;; amdgpu-corpus repo=ROCm/rocSOLVER kind=compiled arch=gfx1030 opt=O3
	.amdgcn_target "amdgcn-amd-amdhsa--gfx1030"
	.amdhsa_code_object_version 6
	.section	.text._ZN9rocsolver6v33100L6iota_nIfEEvPT_jS2_,"axG",@progbits,_ZN9rocsolver6v33100L6iota_nIfEEvPT_jS2_,comdat
	.globl	_ZN9rocsolver6v33100L6iota_nIfEEvPT_jS2_ ; -- Begin function _ZN9rocsolver6v33100L6iota_nIfEEvPT_jS2_
	.p2align	8
	.type	_ZN9rocsolver6v33100L6iota_nIfEEvPT_jS2_,@function
_ZN9rocsolver6v33100L6iota_nIfEEvPT_jS2_: ; @_ZN9rocsolver6v33100L6iota_nIfEEvPT_jS2_
; %bb.0:
	s_load_dwordx2 s[0:1], s[4:5], 0x8
	s_waitcnt lgkmcnt(0)
	v_cmp_gt_u32_e32 vcc_lo, s0, v0
	s_and_saveexec_b32 s0, vcc_lo
	s_cbranch_execz .LBB0_2
; %bb.1:
	s_load_dwordx2 s[2:3], s[4:5], 0x0
	v_cvt_f32_ubyte0_e32 v1, v0
	v_lshlrev_b32_e32 v0, 2, v0
	v_add_f32_e32 v1, s1, v1
	s_waitcnt lgkmcnt(0)
	global_store_dword v0, v1, s[2:3]
.LBB0_2:
	s_endpgm
	.section	.rodata,"a",@progbits
	.p2align	6, 0x0
	.amdhsa_kernel _ZN9rocsolver6v33100L6iota_nIfEEvPT_jS2_
		.amdhsa_group_segment_fixed_size 0
		.amdhsa_private_segment_fixed_size 0
		.amdhsa_kernarg_size 16
		.amdhsa_user_sgpr_count 6
		.amdhsa_user_sgpr_private_segment_buffer 1
		.amdhsa_user_sgpr_dispatch_ptr 0
		.amdhsa_user_sgpr_queue_ptr 0
		.amdhsa_user_sgpr_kernarg_segment_ptr 1
		.amdhsa_user_sgpr_dispatch_id 0
		.amdhsa_user_sgpr_flat_scratch_init 0
		.amdhsa_user_sgpr_private_segment_size 0
		.amdhsa_wavefront_size32 1
		.amdhsa_uses_dynamic_stack 0
		.amdhsa_system_sgpr_private_segment_wavefront_offset 0
		.amdhsa_system_sgpr_workgroup_id_x 1
		.amdhsa_system_sgpr_workgroup_id_y 0
		.amdhsa_system_sgpr_workgroup_id_z 0
		.amdhsa_system_sgpr_workgroup_info 0
		.amdhsa_system_vgpr_workitem_id 0
		.amdhsa_next_free_vgpr 2
		.amdhsa_next_free_sgpr 6
		.amdhsa_reserve_vcc 1
		.amdhsa_reserve_flat_scratch 0
		.amdhsa_float_round_mode_32 0
		.amdhsa_float_round_mode_16_64 0
		.amdhsa_float_denorm_mode_32 3
		.amdhsa_float_denorm_mode_16_64 3
		.amdhsa_dx10_clamp 1
		.amdhsa_ieee_mode 1
		.amdhsa_fp16_overflow 0
		.amdhsa_workgroup_processor_mode 1
		.amdhsa_memory_ordered 1
		.amdhsa_forward_progress 1
		.amdhsa_shared_vgpr_count 0
		.amdhsa_exception_fp_ieee_invalid_op 0
		.amdhsa_exception_fp_denorm_src 0
		.amdhsa_exception_fp_ieee_div_zero 0
		.amdhsa_exception_fp_ieee_overflow 0
		.amdhsa_exception_fp_ieee_underflow 0
		.amdhsa_exception_fp_ieee_inexact 0
		.amdhsa_exception_int_div_zero 0
	.end_amdhsa_kernel
	.section	.text._ZN9rocsolver6v33100L6iota_nIfEEvPT_jS2_,"axG",@progbits,_ZN9rocsolver6v33100L6iota_nIfEEvPT_jS2_,comdat
.Lfunc_end0:
	.size	_ZN9rocsolver6v33100L6iota_nIfEEvPT_jS2_, .Lfunc_end0-_ZN9rocsolver6v33100L6iota_nIfEEvPT_jS2_
                                        ; -- End function
	.set _ZN9rocsolver6v33100L6iota_nIfEEvPT_jS2_.num_vgpr, 2
	.set _ZN9rocsolver6v33100L6iota_nIfEEvPT_jS2_.num_agpr, 0
	.set _ZN9rocsolver6v33100L6iota_nIfEEvPT_jS2_.numbered_sgpr, 6
	.set _ZN9rocsolver6v33100L6iota_nIfEEvPT_jS2_.num_named_barrier, 0
	.set _ZN9rocsolver6v33100L6iota_nIfEEvPT_jS2_.private_seg_size, 0
	.set _ZN9rocsolver6v33100L6iota_nIfEEvPT_jS2_.uses_vcc, 1
	.set _ZN9rocsolver6v33100L6iota_nIfEEvPT_jS2_.uses_flat_scratch, 0
	.set _ZN9rocsolver6v33100L6iota_nIfEEvPT_jS2_.has_dyn_sized_stack, 0
	.set _ZN9rocsolver6v33100L6iota_nIfEEvPT_jS2_.has_recursion, 0
	.set _ZN9rocsolver6v33100L6iota_nIfEEvPT_jS2_.has_indirect_call, 0
	.section	.AMDGPU.csdata,"",@progbits
; Kernel info:
; codeLenInByte = 60
; TotalNumSgprs: 8
; NumVgprs: 2
; ScratchSize: 0
; MemoryBound: 0
; FloatMode: 240
; IeeeMode: 1
; LDSByteSize: 0 bytes/workgroup (compile time only)
; SGPRBlocks: 0
; VGPRBlocks: 0
; NumSGPRsForWavesPerEU: 8
; NumVGPRsForWavesPerEU: 2
; Occupancy: 16
; WaveLimiterHint : 0
; COMPUTE_PGM_RSRC2:SCRATCH_EN: 0
; COMPUTE_PGM_RSRC2:USER_SGPR: 6
; COMPUTE_PGM_RSRC2:TRAP_HANDLER: 0
; COMPUTE_PGM_RSRC2:TGID_X_EN: 1
; COMPUTE_PGM_RSRC2:TGID_Y_EN: 0
; COMPUTE_PGM_RSRC2:TGID_Z_EN: 0
; COMPUTE_PGM_RSRC2:TIDIG_COMP_CNT: 0
	.section	.text._ZN9rocsolver6v33100L16larf_left_kernelILi1024EfiPfEEvT1_S3_T2_lS3_lPKT0_lS4_lS3_l,"axG",@progbits,_ZN9rocsolver6v33100L16larf_left_kernelILi1024EfiPfEEvT1_S3_T2_lS3_lPKT0_lS4_lS3_l,comdat
	.globl	_ZN9rocsolver6v33100L16larf_left_kernelILi1024EfiPfEEvT1_S3_T2_lS3_lPKT0_lS4_lS3_l ; -- Begin function _ZN9rocsolver6v33100L16larf_left_kernelILi1024EfiPfEEvT1_S3_T2_lS3_lPKT0_lS4_lS3_l
	.p2align	8
	.type	_ZN9rocsolver6v33100L16larf_left_kernelILi1024EfiPfEEvT1_S3_T2_lS3_lPKT0_lS4_lS3_l,@function
_ZN9rocsolver6v33100L16larf_left_kernelILi1024EfiPfEEvT1_S3_T2_lS3_lPKT0_lS4_lS3_l: ; @_ZN9rocsolver6v33100L16larf_left_kernelILi1024EfiPfEEvT1_S3_T2_lS3_lPKT0_lS4_lS3_l
; %bb.0:
	s_clause 0x4
	s_load_dword s9, s[4:5], 0x0
	s_load_dwordx2 s[0:1], s[4:5], 0x50
	s_load_dword s2, s[4:5], 0x48
	s_load_dwordx2 s[10:11], s[4:5], 0x40
	s_load_dwordx8 s[12:19], s[4:5], 0x20
	v_mov_b32_e32 v5, 0
	v_lshlrev_b32_e32 v3, 2, v0
	s_ashr_i32 s25, s8, 31
	s_waitcnt lgkmcnt(0)
	v_cmp_gt_i32_e32 vcc_lo, s9, v0
	s_mul_i32 s22, s0, s25
	s_mul_hi_u32 s23, s0, s8
	s_mul_i32 s24, s1, s8
	s_mul_i32 s6, s0, s8
	s_mul_hi_i32 s21, s7, s2
	s_mul_i32 s20, s7, s2
	s_and_saveexec_b32 s26, vcc_lo
	s_cbranch_execz .LBB1_6
; %bb.1:
	s_clause 0x1
	s_load_dword s28, s[4:5], 0x18
	s_load_dwordx4 s[0:3], s[4:5], 0x8
	s_sub_i32 s5, 1, s9
	s_mul_i32 s7, s12, s25
	s_mul_hi_u32 s30, s12, s8
	s_mul_i32 s4, s12, s8
	s_mul_i32 s31, s13, s8
	v_add3_u32 v4, v3, 0, 0x80
	v_mov_b32_e32 v6, v0
	v_mov_b32_e32 v5, v4
	s_waitcnt lgkmcnt(0)
	s_ashr_i32 s29, s28, 31
	v_mad_i64_i32 v[1:2], null, s28, v0, 0
	v_cmp_lt_i64_e64 s27, s[28:29], 1
	s_mul_i32 s5, s28, s5
	s_and_b32 s12, s27, exec_lo
	s_cselect_b32 s12, s5, 0
	s_add_i32 s5, s30, s7
	s_ashr_i32 s13, s12, 31
	s_add_i32 s5, s5, s31
	s_lshl_b64 s[12:13], s[12:13], 2
	s_lshl_b64 s[2:3], s[2:3], 2
	;; [unrolled: 1-line block ×3, first 2 shown]
	v_lshlrev_b64 v[1:2], 2, v[1:2]
	s_add_u32 s0, s0, s12
	s_addc_u32 s1, s1, s13
	s_add_u32 s0, s0, s2
	s_addc_u32 s1, s1, s3
	;; [unrolled: 2-line block ×3, first 2 shown]
	v_add_co_u32 v1, s0, s0, v1
	v_add_co_ci_u32_e64 v2, null, s1, v2, s0
	s_mov_b32 s4, 0
	s_lshl_b64 s[2:3], s[28:29], 12
	.p2align	6
.LBB1_2:                                ; =>This Inner Loop Header: Depth=1
	global_load_dword v7, v[1:2], off
	v_add_nc_u32_e32 v6, 0x400, v6
	v_add_co_u32 v1, s0, v1, s2
	v_add_co_ci_u32_e64 v2, null, s3, v2, s0
	v_cmp_le_i32_e64 s1, s9, v6
	s_or_b32 s4, s1, s4
	s_waitcnt vmcnt(0)
	ds_write_b32 v5, v7
	v_add_nc_u32_e32 v5, 0x1000, v5
	s_andn2_b32 exec_lo, exec_lo, s4
	s_cbranch_execnz .LBB1_2
; %bb.3:
	s_or_b32 exec_lo, exec_lo, s4
	s_add_i32 s0, s23, s22
	v_lshlrev_b32_e32 v1, 2, v0
	s_add_i32 s7, s0, s24
	s_lshl_b64 s[0:1], s[20:21], 2
	s_lshl_b64 s[2:3], s[6:7], 2
	v_mov_b32_e32 v5, 0
	s_add_u32 s2, s2, s0
	s_addc_u32 s3, s3, s1
	s_lshl_b64 s[0:1], s[10:11], 2
	v_mov_b32_e32 v6, v0
	s_add_u32 s0, s2, s0
	s_addc_u32 s1, s3, s1
	s_add_u32 s0, s18, s0
	s_addc_u32 s1, s19, s1
	v_add_co_u32 v1, s0, s0, v1
	v_add_co_ci_u32_e64 v2, null, s1, 0, s0
	s_mov_b32 s2, 0
	.p2align	6
.LBB1_4:                                ; =>This Inner Loop Header: Depth=1
	global_load_dword v7, v[1:2], off
	ds_read_b32 v8, v4
	v_add_nc_u32_e32 v6, 0x400, v6
	v_add_co_u32 v1, s0, 0x1000, v1
	v_add_nc_u32_e32 v4, 0x1000, v4
	v_add_co_ci_u32_e64 v2, null, 0, v2, s0
	v_cmp_le_i32_e64 s1, s9, v6
	s_or_b32 s2, s1, s2
	s_waitcnt vmcnt(0) lgkmcnt(0)
	v_fmac_f32_e32 v5, v7, v8
	s_andn2_b32 exec_lo, exec_lo, s2
	s_cbranch_execnz .LBB1_4
; %bb.5:
	s_or_b32 exec_lo, exec_lo, s2
.LBB1_6:
	s_or_b32 exec_lo, exec_lo, s26
	v_mbcnt_lo_u32_b32 v1, -1, 0
	s_mov_b32 s1, exec_lo
	v_cmp_ne_u32_e64 s0, 31, v1
	v_add_co_ci_u32_e64 v2, null, 0, v1, s0
	v_cmp_gt_u32_e64 s0, 30, v1
	v_lshlrev_b32_e32 v2, 2, v2
	v_cndmask_b32_e64 v4, 0, 2, s0
	v_cmp_gt_u32_e64 s0, 28, v1
	ds_bpermute_b32 v2, v2, v5
	v_add_lshl_u32 v4, v4, v1, 2
	s_waitcnt lgkmcnt(0)
	v_add_f32_e32 v2, v5, v2
	v_cndmask_b32_e64 v5, 0, 4, s0
	v_cmp_gt_u32_e64 s0, 24, v1
	ds_bpermute_b32 v4, v4, v2
	v_add_lshl_u32 v5, v5, v1, 2
	s_waitcnt lgkmcnt(0)
	v_add_f32_e32 v2, v2, v4
	ds_bpermute_b32 v4, v5, v2
	v_cndmask_b32_e64 v5, 0, 8, s0
	v_add_lshl_u32 v5, v5, v1, 2
	v_lshl_or_b32 v1, v1, 2, 64
	s_waitcnt lgkmcnt(0)
	v_add_f32_e32 v2, v2, v4
	ds_bpermute_b32 v4, v5, v2
	s_waitcnt lgkmcnt(0)
	v_add_f32_e32 v2, v2, v4
	v_and_b32_e32 v4, 31, v0
	ds_bpermute_b32 v1, v1, v2
	s_waitcnt lgkmcnt(0)
	v_add_f32_e32 v1, v2, v1
	v_cmpx_eq_u32_e32 0, v4
; %bb.7:
	v_lshrrev_b32_e32 v2, 3, v0
	v_add_nc_u32_e32 v2, 0, v2
	ds_write_b32 v2, v1
; %bb.8:
	s_or_b32 exec_lo, exec_lo, s1
	s_mov_b32 s1, exec_lo
	s_waitcnt lgkmcnt(0)
	s_barrier
	buffer_gl0_inv
	v_cmpx_eq_u32_e32 0, v0
	s_cbranch_execz .LBB1_10
; %bb.9:
	v_mov_b32_e32 v12, 0
	ds_read2_b32 v[4:5], v12 offset0:1 offset1:2
	ds_read2_b32 v[6:7], v12 offset0:3 offset1:4
	;; [unrolled: 1-line block ×4, first 2 shown]
	s_waitcnt lgkmcnt(3)
	v_add_f32_e32 v1, v1, v4
	v_add_f32_e32 v1, v1, v5
	s_waitcnt lgkmcnt(2)
	v_add_f32_e32 v1, v1, v6
	v_add_f32_e32 v4, v1, v7
	ds_read2_b32 v[1:2], v12 offset0:9 offset1:10
	s_waitcnt lgkmcnt(2)
	v_add_f32_e32 v4, v4, v8
	v_add_f32_e32 v6, v4, v9
	ds_read2_b32 v[4:5], v12 offset0:11 offset1:12
	;; [unrolled: 4-line block ×3, first 2 shown]
	ds_read2_b32 v[8:9], v12 offset0:15 offset1:16
	s_waitcnt lgkmcnt(3)
	v_add_f32_e32 v1, v10, v1
	v_add_f32_e32 v1, v1, v2
	s_waitcnt lgkmcnt(2)
	v_add_f32_e32 v1, v1, v4
	v_add_f32_e32 v4, v1, v5
	ds_read2_b32 v[1:2], v12 offset0:17 offset1:18
	s_waitcnt lgkmcnt(2)
	v_add_f32_e32 v4, v4, v6
	v_add_f32_e32 v6, v4, v7
	ds_read2_b32 v[4:5], v12 offset0:19 offset1:20
	;; [unrolled: 4-line block ×3, first 2 shown]
	ds_read2_b32 v[8:9], v12 offset0:23 offset1:24
	s_waitcnt lgkmcnt(3)
	v_add_f32_e32 v1, v10, v1
	v_add_f32_e32 v1, v1, v2
	s_waitcnt lgkmcnt(2)
	v_add_f32_e32 v1, v1, v4
	v_add_f32_e32 v1, v1, v5
	s_waitcnt lgkmcnt(1)
	v_add_f32_e32 v4, v1, v6
	ds_read2_b32 v[1:2], v12 offset0:25 offset1:26
	v_add_f32_e32 v4, v4, v7
	s_waitcnt lgkmcnt(1)
	v_add_f32_e32 v6, v4, v8
	ds_read2_b32 v[4:5], v12 offset0:27 offset1:28
	v_add_f32_e32 v8, v6, v9
	ds_read2_b32 v[6:7], v12 offset0:29 offset1:30
	ds_read_b32 v9, v12 offset:124
	s_waitcnt lgkmcnt(3)
	v_add_f32_e32 v1, v8, v1
	v_add_f32_e32 v1, v1, v2
	s_waitcnt lgkmcnt(2)
	v_add_f32_e32 v1, v1, v4
	v_add_f32_e32 v1, v1, v5
	;; [unrolled: 3-line block ×3, first 2 shown]
	s_waitcnt lgkmcnt(0)
	v_add_f32_e32 v1, v1, v9
	ds_write_b32 v12, v1
.LBB1_10:
	s_or_b32 exec_lo, exec_lo, s1
	s_waitcnt lgkmcnt(0)
	s_barrier
	buffer_gl0_inv
	s_and_saveexec_b32 s0, vcc_lo
	s_cbranch_execz .LBB1_13
; %bb.11:
	s_mul_i32 s0, s16, s25
	s_mul_hi_u32 s1, s16, s8
	s_mul_i32 s2, s17, s8
	s_add_i32 s0, s1, s0
	v_mov_b32_e32 v1, 0
	s_add_i32 s1, s0, s2
	s_mul_i32 s0, s16, s8
	v_add3_u32 v4, v3, 0, 0x80
	s_lshl_b64 s[0:1], s[0:1], 2
	ds_read_b32 v1, v1
	s_add_u32 s0, s14, s0
	s_addc_u32 s1, s15, s1
	s_load_dword s4, s[0:1], 0x0
	s_add_i32 s0, s23, s22
	s_add_i32 s7, s0, s24
	s_lshl_b64 s[0:1], s[20:21], 2
	s_lshl_b64 s[2:3], s[6:7], 2
	s_add_u32 s2, s2, s0
	s_addc_u32 s3, s3, s1
	s_lshl_b64 s[0:1], s[10:11], 2
	s_add_u32 s0, s2, s0
	s_addc_u32 s1, s3, s1
	s_add_u32 s0, s18, s0
	s_addc_u32 s1, s19, s1
	s_waitcnt lgkmcnt(0)
	v_mul_f32_e64 v5, v1, -s4
	v_add_co_u32 v1, s0, s0, v3
	v_add_co_ci_u32_e64 v2, null, s1, 0, s0
	s_mov_b32 s1, 0
	.p2align	6
.LBB1_12:                               ; =>This Inner Loop Header: Depth=1
	global_load_dword v3, v[1:2], off
	ds_read_b32 v6, v4
	v_add_nc_u32_e32 v0, 0x400, v0
	v_add_nc_u32_e32 v4, 0x1000, v4
	v_cmp_le_i32_e32 vcc_lo, s9, v0
	s_or_b32 s1, vcc_lo, s1
	s_waitcnt vmcnt(0) lgkmcnt(0)
	v_fmac_f32_e32 v3, v5, v6
	global_store_dword v[1:2], v3, off
	v_add_co_u32 v1, s0, 0x1000, v1
	v_add_co_ci_u32_e64 v2, null, 0, v2, s0
	s_andn2_b32 exec_lo, exec_lo, s1
	s_cbranch_execnz .LBB1_12
.LBB1_13:
	s_endpgm
	.section	.rodata,"a",@progbits
	.p2align	6, 0x0
	.amdhsa_kernel _ZN9rocsolver6v33100L16larf_left_kernelILi1024EfiPfEEvT1_S3_T2_lS3_lPKT0_lS4_lS3_l
		.amdhsa_group_segment_fixed_size 0
		.amdhsa_private_segment_fixed_size 0
		.amdhsa_kernarg_size 88
		.amdhsa_user_sgpr_count 6
		.amdhsa_user_sgpr_private_segment_buffer 1
		.amdhsa_user_sgpr_dispatch_ptr 0
		.amdhsa_user_sgpr_queue_ptr 0
		.amdhsa_user_sgpr_kernarg_segment_ptr 1
		.amdhsa_user_sgpr_dispatch_id 0
		.amdhsa_user_sgpr_flat_scratch_init 0
		.amdhsa_user_sgpr_private_segment_size 0
		.amdhsa_wavefront_size32 1
		.amdhsa_uses_dynamic_stack 0
		.amdhsa_system_sgpr_private_segment_wavefront_offset 0
		.amdhsa_system_sgpr_workgroup_id_x 1
		.amdhsa_system_sgpr_workgroup_id_y 1
		.amdhsa_system_sgpr_workgroup_id_z 1
		.amdhsa_system_sgpr_workgroup_info 0
		.amdhsa_system_vgpr_workitem_id 0
		.amdhsa_next_free_vgpr 13
		.amdhsa_next_free_sgpr 32
		.amdhsa_reserve_vcc 1
		.amdhsa_reserve_flat_scratch 0
		.amdhsa_float_round_mode_32 0
		.amdhsa_float_round_mode_16_64 0
		.amdhsa_float_denorm_mode_32 3
		.amdhsa_float_denorm_mode_16_64 3
		.amdhsa_dx10_clamp 1
		.amdhsa_ieee_mode 1
		.amdhsa_fp16_overflow 0
		.amdhsa_workgroup_processor_mode 1
		.amdhsa_memory_ordered 1
		.amdhsa_forward_progress 1
		.amdhsa_shared_vgpr_count 0
		.amdhsa_exception_fp_ieee_invalid_op 0
		.amdhsa_exception_fp_denorm_src 0
		.amdhsa_exception_fp_ieee_div_zero 0
		.amdhsa_exception_fp_ieee_overflow 0
		.amdhsa_exception_fp_ieee_underflow 0
		.amdhsa_exception_fp_ieee_inexact 0
		.amdhsa_exception_int_div_zero 0
	.end_amdhsa_kernel
	.section	.text._ZN9rocsolver6v33100L16larf_left_kernelILi1024EfiPfEEvT1_S3_T2_lS3_lPKT0_lS4_lS3_l,"axG",@progbits,_ZN9rocsolver6v33100L16larf_left_kernelILi1024EfiPfEEvT1_S3_T2_lS3_lPKT0_lS4_lS3_l,comdat
.Lfunc_end1:
	.size	_ZN9rocsolver6v33100L16larf_left_kernelILi1024EfiPfEEvT1_S3_T2_lS3_lPKT0_lS4_lS3_l, .Lfunc_end1-_ZN9rocsolver6v33100L16larf_left_kernelILi1024EfiPfEEvT1_S3_T2_lS3_lPKT0_lS4_lS3_l
                                        ; -- End function
	.set _ZN9rocsolver6v33100L16larf_left_kernelILi1024EfiPfEEvT1_S3_T2_lS3_lPKT0_lS4_lS3_l.num_vgpr, 13
	.set _ZN9rocsolver6v33100L16larf_left_kernelILi1024EfiPfEEvT1_S3_T2_lS3_lPKT0_lS4_lS3_l.num_agpr, 0
	.set _ZN9rocsolver6v33100L16larf_left_kernelILi1024EfiPfEEvT1_S3_T2_lS3_lPKT0_lS4_lS3_l.numbered_sgpr, 32
	.set _ZN9rocsolver6v33100L16larf_left_kernelILi1024EfiPfEEvT1_S3_T2_lS3_lPKT0_lS4_lS3_l.num_named_barrier, 0
	.set _ZN9rocsolver6v33100L16larf_left_kernelILi1024EfiPfEEvT1_S3_T2_lS3_lPKT0_lS4_lS3_l.private_seg_size, 0
	.set _ZN9rocsolver6v33100L16larf_left_kernelILi1024EfiPfEEvT1_S3_T2_lS3_lPKT0_lS4_lS3_l.uses_vcc, 1
	.set _ZN9rocsolver6v33100L16larf_left_kernelILi1024EfiPfEEvT1_S3_T2_lS3_lPKT0_lS4_lS3_l.uses_flat_scratch, 0
	.set _ZN9rocsolver6v33100L16larf_left_kernelILi1024EfiPfEEvT1_S3_T2_lS3_lPKT0_lS4_lS3_l.has_dyn_sized_stack, 0
	.set _ZN9rocsolver6v33100L16larf_left_kernelILi1024EfiPfEEvT1_S3_T2_lS3_lPKT0_lS4_lS3_l.has_recursion, 0
	.set _ZN9rocsolver6v33100L16larf_left_kernelILi1024EfiPfEEvT1_S3_T2_lS3_lPKT0_lS4_lS3_l.has_indirect_call, 0
	.section	.AMDGPU.csdata,"",@progbits
; Kernel info:
; codeLenInByte = 1496
; TotalNumSgprs: 34
; NumVgprs: 13
; ScratchSize: 0
; MemoryBound: 0
; FloatMode: 240
; IeeeMode: 1
; LDSByteSize: 0 bytes/workgroup (compile time only)
; SGPRBlocks: 0
; VGPRBlocks: 1
; NumSGPRsForWavesPerEU: 34
; NumVGPRsForWavesPerEU: 13
; Occupancy: 16
; WaveLimiterHint : 0
; COMPUTE_PGM_RSRC2:SCRATCH_EN: 0
; COMPUTE_PGM_RSRC2:USER_SGPR: 6
; COMPUTE_PGM_RSRC2:TRAP_HANDLER: 0
; COMPUTE_PGM_RSRC2:TGID_X_EN: 1
; COMPUTE_PGM_RSRC2:TGID_Y_EN: 1
; COMPUTE_PGM_RSRC2:TGID_Z_EN: 1
; COMPUTE_PGM_RSRC2:TIDIG_COMP_CNT: 0
	.section	.text._ZN9rocsolver6v33100L17larf_right_kernelILi1024EfiPfEEvT1_S3_T2_lS3_lPKT0_lS4_lS3_l,"axG",@progbits,_ZN9rocsolver6v33100L17larf_right_kernelILi1024EfiPfEEvT1_S3_T2_lS3_lPKT0_lS4_lS3_l,comdat
	.globl	_ZN9rocsolver6v33100L17larf_right_kernelILi1024EfiPfEEvT1_S3_T2_lS3_lPKT0_lS4_lS3_l ; -- Begin function _ZN9rocsolver6v33100L17larf_right_kernelILi1024EfiPfEEvT1_S3_T2_lS3_lPKT0_lS4_lS3_l
	.p2align	8
	.type	_ZN9rocsolver6v33100L17larf_right_kernelILi1024EfiPfEEvT1_S3_T2_lS3_lPKT0_lS4_lS3_l,@function
_ZN9rocsolver6v33100L17larf_right_kernelILi1024EfiPfEEvT1_S3_T2_lS3_lPKT0_lS4_lS3_l: ; @_ZN9rocsolver6v33100L17larf_right_kernelILi1024EfiPfEEvT1_S3_T2_lS3_lPKT0_lS4_lS3_l
; %bb.0:
	s_clause 0x4
	s_load_dword s9, s[4:5], 0x4
	s_load_dwordx2 s[0:1], s[4:5], 0x50
	s_load_dwordx2 s[20:21], s[4:5], 0x40
	s_load_dword s6, s[4:5], 0x48
	s_load_dwordx8 s[12:19], s[4:5], 0x20
	v_mov_b32_e32 v5, 0
	v_lshlrev_b32_e32 v3, 2, v0
	s_ashr_i32 s27, s8, 31
	s_mov_b32 s10, s7
	s_ashr_i32 s11, s7, 31
	s_waitcnt lgkmcnt(0)
	v_cmp_gt_i32_e32 vcc_lo, s9, v0
	s_mul_i32 s24, s0, s27
	s_mul_hi_u32 s26, s0, s8
	s_mul_i32 s25, s1, s8
	s_mul_i32 s22, s0, s8
	s_and_saveexec_b32 s28, vcc_lo
	s_cbranch_execz .LBB2_6
; %bb.1:
	s_clause 0x1
	s_load_dword s30, s[4:5], 0x18
	s_load_dwordx4 s[0:3], s[4:5], 0x8
	s_sub_i32 s5, 1, s9
	s_mul_i32 s7, s12, s27
	s_mul_hi_u32 s29, s12, s8
	s_mul_i32 s4, s12, s8
	s_mul_i32 s33, s13, s8
	v_add3_u32 v4, v3, 0, 0x80
	v_mov_b32_e32 v6, v0
	v_mov_b32_e32 v5, v4
	s_waitcnt lgkmcnt(0)
	s_ashr_i32 s31, s30, 31
	v_mad_i64_i32 v[1:2], null, s30, v0, 0
	v_cmp_lt_i64_e64 s23, s[30:31], 1
	s_mul_i32 s5, s30, s5
	s_and_b32 s12, s23, exec_lo
	s_cselect_b32 s12, s5, 0
	s_add_i32 s5, s29, s7
	s_ashr_i32 s13, s12, 31
	s_add_i32 s5, s5, s33
	s_lshl_b64 s[12:13], s[12:13], 2
	s_lshl_b64 s[2:3], s[2:3], 2
	;; [unrolled: 1-line block ×3, first 2 shown]
	v_lshlrev_b64 v[1:2], 2, v[1:2]
	s_add_u32 s0, s0, s12
	s_addc_u32 s1, s1, s13
	s_add_u32 s0, s0, s2
	s_addc_u32 s1, s1, s3
	;; [unrolled: 2-line block ×3, first 2 shown]
	v_add_co_u32 v1, s0, s0, v1
	v_add_co_ci_u32_e64 v2, null, s1, v2, s0
	s_mov_b32 s4, 0
	s_lshl_b64 s[2:3], s[30:31], 12
	.p2align	6
.LBB2_2:                                ; =>This Inner Loop Header: Depth=1
	global_load_dword v7, v[1:2], off
	v_add_nc_u32_e32 v6, 0x400, v6
	v_add_co_u32 v1, s0, v1, s2
	v_add_co_ci_u32_e64 v2, null, s3, v2, s0
	v_cmp_le_i32_e64 s1, s9, v6
	s_or_b32 s4, s1, s4
	s_waitcnt vmcnt(0)
	ds_write_b32 v5, v7
	v_add_nc_u32_e32 v5, 0x1000, v5
	s_andn2_b32 exec_lo, exec_lo, s4
	s_cbranch_execnz .LBB2_2
; %bb.3:
	s_or_b32 exec_lo, exec_lo, s4
	v_mad_i64_i32 v[1:2], null, s6, v0, 0
	s_add_i32 s2, s26, s24
	s_ashr_i32 s7, s6, 31
	s_add_i32 s23, s2, s25
	s_lshl_b64 s[2:3], s[10:11], 2
	s_lshl_b64 s[0:1], s[20:21], 2
	;; [unrolled: 1-line block ×3, first 2 shown]
	v_lshlrev_b64 v[1:2], 2, v[1:2]
	s_add_u32 s2, s18, s2
	s_addc_u32 s3, s19, s3
	s_add_u32 s0, s2, s0
	s_addc_u32 s1, s3, s1
	s_add_u32 s0, s0, s4
	s_addc_u32 s1, s1, s5
	v_add_co_u32 v1, s0, s0, v1
	v_add_co_ci_u32_e64 v2, null, s1, v2, s0
	v_mov_b32_e32 v5, 0
	v_mov_b32_e32 v6, v0
	s_lshl_b64 s[2:3], s[6:7], 12
	s_mov_b32 s4, 0
	.p2align	6
.LBB2_4:                                ; =>This Inner Loop Header: Depth=1
	global_load_dword v7, v[1:2], off
	ds_read_b32 v8, v4
	v_add_nc_u32_e32 v6, 0x400, v6
	v_add_co_u32 v1, s0, v1, s2
	v_add_nc_u32_e32 v4, 0x1000, v4
	v_add_co_ci_u32_e64 v2, null, s3, v2, s0
	v_cmp_le_i32_e64 s1, s9, v6
	s_or_b32 s4, s1, s4
	s_waitcnt vmcnt(0) lgkmcnt(0)
	v_fmac_f32_e32 v5, v7, v8
	s_andn2_b32 exec_lo, exec_lo, s4
	s_cbranch_execnz .LBB2_4
; %bb.5:
	s_or_b32 exec_lo, exec_lo, s4
.LBB2_6:
	s_or_b32 exec_lo, exec_lo, s28
	v_mbcnt_lo_u32_b32 v1, -1, 0
	s_mov_b32 s1, exec_lo
	v_cmp_ne_u32_e64 s0, 31, v1
	v_add_co_ci_u32_e64 v2, null, 0, v1, s0
	v_cmp_gt_u32_e64 s0, 30, v1
	v_lshlrev_b32_e32 v2, 2, v2
	v_cndmask_b32_e64 v4, 0, 2, s0
	v_cmp_gt_u32_e64 s0, 28, v1
	ds_bpermute_b32 v2, v2, v5
	v_add_lshl_u32 v4, v4, v1, 2
	s_waitcnt lgkmcnt(0)
	v_add_f32_e32 v2, v5, v2
	v_cndmask_b32_e64 v5, 0, 4, s0
	v_cmp_gt_u32_e64 s0, 24, v1
	ds_bpermute_b32 v4, v4, v2
	v_add_lshl_u32 v5, v5, v1, 2
	s_waitcnt lgkmcnt(0)
	v_add_f32_e32 v2, v2, v4
	ds_bpermute_b32 v4, v5, v2
	v_cndmask_b32_e64 v5, 0, 8, s0
	v_add_lshl_u32 v5, v5, v1, 2
	v_lshl_or_b32 v1, v1, 2, 64
	s_waitcnt lgkmcnt(0)
	v_add_f32_e32 v2, v2, v4
	ds_bpermute_b32 v4, v5, v2
	s_waitcnt lgkmcnt(0)
	v_add_f32_e32 v2, v2, v4
	v_and_b32_e32 v4, 31, v0
	ds_bpermute_b32 v1, v1, v2
	s_waitcnt lgkmcnt(0)
	v_add_f32_e32 v1, v2, v1
	v_cmpx_eq_u32_e32 0, v4
; %bb.7:
	v_lshrrev_b32_e32 v2, 3, v0
	v_add_nc_u32_e32 v2, 0, v2
	ds_write_b32 v2, v1
; %bb.8:
	s_or_b32 exec_lo, exec_lo, s1
	s_mov_b32 s1, exec_lo
	s_waitcnt lgkmcnt(0)
	s_barrier
	buffer_gl0_inv
	v_cmpx_eq_u32_e32 0, v0
	s_cbranch_execz .LBB2_10
; %bb.9:
	v_mov_b32_e32 v12, 0
	ds_read2_b32 v[4:5], v12 offset0:1 offset1:2
	ds_read2_b32 v[6:7], v12 offset0:3 offset1:4
	;; [unrolled: 1-line block ×4, first 2 shown]
	s_waitcnt lgkmcnt(3)
	v_add_f32_e32 v1, v1, v4
	v_add_f32_e32 v1, v1, v5
	s_waitcnt lgkmcnt(2)
	v_add_f32_e32 v1, v1, v6
	v_add_f32_e32 v4, v1, v7
	ds_read2_b32 v[1:2], v12 offset0:9 offset1:10
	s_waitcnt lgkmcnt(2)
	v_add_f32_e32 v4, v4, v8
	v_add_f32_e32 v6, v4, v9
	ds_read2_b32 v[4:5], v12 offset0:11 offset1:12
	;; [unrolled: 4-line block ×3, first 2 shown]
	ds_read2_b32 v[8:9], v12 offset0:15 offset1:16
	s_waitcnt lgkmcnt(3)
	v_add_f32_e32 v1, v10, v1
	v_add_f32_e32 v1, v1, v2
	s_waitcnt lgkmcnt(2)
	v_add_f32_e32 v1, v1, v4
	v_add_f32_e32 v4, v1, v5
	ds_read2_b32 v[1:2], v12 offset0:17 offset1:18
	s_waitcnt lgkmcnt(2)
	v_add_f32_e32 v4, v4, v6
	v_add_f32_e32 v6, v4, v7
	ds_read2_b32 v[4:5], v12 offset0:19 offset1:20
	;; [unrolled: 4-line block ×3, first 2 shown]
	ds_read2_b32 v[8:9], v12 offset0:23 offset1:24
	s_waitcnt lgkmcnt(3)
	v_add_f32_e32 v1, v10, v1
	v_add_f32_e32 v1, v1, v2
	s_waitcnt lgkmcnt(2)
	v_add_f32_e32 v1, v1, v4
	v_add_f32_e32 v1, v1, v5
	s_waitcnt lgkmcnt(1)
	v_add_f32_e32 v4, v1, v6
	ds_read2_b32 v[1:2], v12 offset0:25 offset1:26
	v_add_f32_e32 v4, v4, v7
	s_waitcnt lgkmcnt(1)
	v_add_f32_e32 v6, v4, v8
	ds_read2_b32 v[4:5], v12 offset0:27 offset1:28
	v_add_f32_e32 v8, v6, v9
	ds_read2_b32 v[6:7], v12 offset0:29 offset1:30
	ds_read_b32 v9, v12 offset:124
	s_waitcnt lgkmcnt(3)
	v_add_f32_e32 v1, v8, v1
	v_add_f32_e32 v1, v1, v2
	s_waitcnt lgkmcnt(2)
	v_add_f32_e32 v1, v1, v4
	v_add_f32_e32 v1, v1, v5
	;; [unrolled: 3-line block ×3, first 2 shown]
	s_waitcnt lgkmcnt(0)
	v_add_f32_e32 v1, v1, v9
	ds_write_b32 v12, v1
.LBB2_10:
	s_or_b32 exec_lo, exec_lo, s1
	s_waitcnt lgkmcnt(0)
	s_barrier
	buffer_gl0_inv
	s_and_saveexec_b32 s0, vcc_lo
	s_cbranch_execz .LBB2_13
; %bb.11:
	s_mul_i32 s0, s16, s27
	s_mul_hi_u32 s1, s16, s8
	s_mul_i32 s2, s17, s8
	s_add_i32 s0, s1, s0
	v_mov_b32_e32 v1, 0
	s_add_i32 s1, s0, s2
	s_mul_i32 s0, s16, s8
	v_add3_u32 v3, v3, 0, 0x80
	s_lshl_b64 s[0:1], s[0:1], 2
	ds_read_b32 v4, v1
	s_add_u32 s0, s14, s0
	s_addc_u32 s1, s15, s1
	v_mad_i64_i32 v[1:2], null, s6, v0, 0
	s_load_dword s8, s[0:1], 0x0
	s_add_i32 s2, s26, s24
	s_ashr_i32 s7, s6, 31
	s_add_i32 s23, s2, s25
	s_lshl_b64 s[2:3], s[10:11], 2
	s_lshl_b64 s[0:1], s[20:21], 2
	;; [unrolled: 1-line block ×3, first 2 shown]
	v_lshlrev_b64 v[1:2], 2, v[1:2]
	s_add_u32 s2, s18, s2
	s_addc_u32 s3, s19, s3
	s_add_u32 s0, s2, s0
	s_addc_u32 s1, s3, s1
	;; [unrolled: 2-line block ×3, first 2 shown]
	v_add_co_u32 v1, vcc_lo, s0, v1
	v_add_co_ci_u32_e64 v2, null, s1, v2, vcc_lo
	s_mov_b32 s1, 0
	s_lshl_b64 s[2:3], s[6:7], 12
	s_waitcnt lgkmcnt(0)
	v_mul_f32_e64 v4, v4, -s8
	.p2align	6
.LBB2_12:                               ; =>This Inner Loop Header: Depth=1
	global_load_dword v5, v[1:2], off
	ds_read_b32 v6, v3
	v_add_nc_u32_e32 v0, 0x400, v0
	v_add_nc_u32_e32 v3, 0x1000, v3
	v_cmp_le_i32_e32 vcc_lo, s9, v0
	s_or_b32 s1, vcc_lo, s1
	s_waitcnt vmcnt(0) lgkmcnt(0)
	v_fmac_f32_e32 v5, v4, v6
	global_store_dword v[1:2], v5, off
	v_add_co_u32 v1, s0, v1, s2
	v_add_co_ci_u32_e64 v2, null, s3, v2, s0
	s_andn2_b32 exec_lo, exec_lo, s1
	s_cbranch_execnz .LBB2_12
.LBB2_13:
	s_endpgm
	.section	.rodata,"a",@progbits
	.p2align	6, 0x0
	.amdhsa_kernel _ZN9rocsolver6v33100L17larf_right_kernelILi1024EfiPfEEvT1_S3_T2_lS3_lPKT0_lS4_lS3_l
		.amdhsa_group_segment_fixed_size 0
		.amdhsa_private_segment_fixed_size 0
		.amdhsa_kernarg_size 88
		.amdhsa_user_sgpr_count 6
		.amdhsa_user_sgpr_private_segment_buffer 1
		.amdhsa_user_sgpr_dispatch_ptr 0
		.amdhsa_user_sgpr_queue_ptr 0
		.amdhsa_user_sgpr_kernarg_segment_ptr 1
		.amdhsa_user_sgpr_dispatch_id 0
		.amdhsa_user_sgpr_flat_scratch_init 0
		.amdhsa_user_sgpr_private_segment_size 0
		.amdhsa_wavefront_size32 1
		.amdhsa_uses_dynamic_stack 0
		.amdhsa_system_sgpr_private_segment_wavefront_offset 0
		.amdhsa_system_sgpr_workgroup_id_x 1
		.amdhsa_system_sgpr_workgroup_id_y 1
		.amdhsa_system_sgpr_workgroup_id_z 1
		.amdhsa_system_sgpr_workgroup_info 0
		.amdhsa_system_vgpr_workitem_id 0
		.amdhsa_next_free_vgpr 13
		.amdhsa_next_free_sgpr 34
		.amdhsa_reserve_vcc 1
		.amdhsa_reserve_flat_scratch 0
		.amdhsa_float_round_mode_32 0
		.amdhsa_float_round_mode_16_64 0
		.amdhsa_float_denorm_mode_32 3
		.amdhsa_float_denorm_mode_16_64 3
		.amdhsa_dx10_clamp 1
		.amdhsa_ieee_mode 1
		.amdhsa_fp16_overflow 0
		.amdhsa_workgroup_processor_mode 1
		.amdhsa_memory_ordered 1
		.amdhsa_forward_progress 1
		.amdhsa_shared_vgpr_count 0
		.amdhsa_exception_fp_ieee_invalid_op 0
		.amdhsa_exception_fp_denorm_src 0
		.amdhsa_exception_fp_ieee_div_zero 0
		.amdhsa_exception_fp_ieee_overflow 0
		.amdhsa_exception_fp_ieee_underflow 0
		.amdhsa_exception_fp_ieee_inexact 0
		.amdhsa_exception_int_div_zero 0
	.end_amdhsa_kernel
	.section	.text._ZN9rocsolver6v33100L17larf_right_kernelILi1024EfiPfEEvT1_S3_T2_lS3_lPKT0_lS4_lS3_l,"axG",@progbits,_ZN9rocsolver6v33100L17larf_right_kernelILi1024EfiPfEEvT1_S3_T2_lS3_lPKT0_lS4_lS3_l,comdat
.Lfunc_end2:
	.size	_ZN9rocsolver6v33100L17larf_right_kernelILi1024EfiPfEEvT1_S3_T2_lS3_lPKT0_lS4_lS3_l, .Lfunc_end2-_ZN9rocsolver6v33100L17larf_right_kernelILi1024EfiPfEEvT1_S3_T2_lS3_lPKT0_lS4_lS3_l
                                        ; -- End function
	.set _ZN9rocsolver6v33100L17larf_right_kernelILi1024EfiPfEEvT1_S3_T2_lS3_lPKT0_lS4_lS3_l.num_vgpr, 13
	.set _ZN9rocsolver6v33100L17larf_right_kernelILi1024EfiPfEEvT1_S3_T2_lS3_lPKT0_lS4_lS3_l.num_agpr, 0
	.set _ZN9rocsolver6v33100L17larf_right_kernelILi1024EfiPfEEvT1_S3_T2_lS3_lPKT0_lS4_lS3_l.numbered_sgpr, 34
	.set _ZN9rocsolver6v33100L17larf_right_kernelILi1024EfiPfEEvT1_S3_T2_lS3_lPKT0_lS4_lS3_l.num_named_barrier, 0
	.set _ZN9rocsolver6v33100L17larf_right_kernelILi1024EfiPfEEvT1_S3_T2_lS3_lPKT0_lS4_lS3_l.private_seg_size, 0
	.set _ZN9rocsolver6v33100L17larf_right_kernelILi1024EfiPfEEvT1_S3_T2_lS3_lPKT0_lS4_lS3_l.uses_vcc, 1
	.set _ZN9rocsolver6v33100L17larf_right_kernelILi1024EfiPfEEvT1_S3_T2_lS3_lPKT0_lS4_lS3_l.uses_flat_scratch, 0
	.set _ZN9rocsolver6v33100L17larf_right_kernelILi1024EfiPfEEvT1_S3_T2_lS3_lPKT0_lS4_lS3_l.has_dyn_sized_stack, 0
	.set _ZN9rocsolver6v33100L17larf_right_kernelILi1024EfiPfEEvT1_S3_T2_lS3_lPKT0_lS4_lS3_l.has_recursion, 0
	.set _ZN9rocsolver6v33100L17larf_right_kernelILi1024EfiPfEEvT1_S3_T2_lS3_lPKT0_lS4_lS3_l.has_indirect_call, 0
	.section	.AMDGPU.csdata,"",@progbits
; Kernel info:
; codeLenInByte = 1492
; TotalNumSgprs: 36
; NumVgprs: 13
; ScratchSize: 0
; MemoryBound: 0
; FloatMode: 240
; IeeeMode: 1
; LDSByteSize: 0 bytes/workgroup (compile time only)
; SGPRBlocks: 0
; VGPRBlocks: 1
; NumSGPRsForWavesPerEU: 36
; NumVGPRsForWavesPerEU: 13
; Occupancy: 16
; WaveLimiterHint : 0
; COMPUTE_PGM_RSRC2:SCRATCH_EN: 0
; COMPUTE_PGM_RSRC2:USER_SGPR: 6
; COMPUTE_PGM_RSRC2:TRAP_HANDLER: 0
; COMPUTE_PGM_RSRC2:TGID_X_EN: 1
; COMPUTE_PGM_RSRC2:TGID_Y_EN: 1
; COMPUTE_PGM_RSRC2:TGID_Z_EN: 1
; COMPUTE_PGM_RSRC2:TIDIG_COMP_CNT: 0
	.section	.text._ZN9rocsolver6v33100L6iota_nIdEEvPT_jS2_,"axG",@progbits,_ZN9rocsolver6v33100L6iota_nIdEEvPT_jS2_,comdat
	.globl	_ZN9rocsolver6v33100L6iota_nIdEEvPT_jS2_ ; -- Begin function _ZN9rocsolver6v33100L6iota_nIdEEvPT_jS2_
	.p2align	8
	.type	_ZN9rocsolver6v33100L6iota_nIdEEvPT_jS2_,@function
_ZN9rocsolver6v33100L6iota_nIdEEvPT_jS2_: ; @_ZN9rocsolver6v33100L6iota_nIdEEvPT_jS2_
; %bb.0:
	s_load_dword s0, s[4:5], 0x8
	s_waitcnt lgkmcnt(0)
	v_cmp_gt_u32_e32 vcc_lo, s0, v0
	s_and_saveexec_b32 s0, vcc_lo
	s_cbranch_execz .LBB3_2
; %bb.1:
	v_cvt_f64_u32_e32 v[1:2], v0
	s_load_dwordx2 s[0:1], s[4:5], 0x10
	v_lshlrev_b32_e32 v0, 3, v0
	s_waitcnt lgkmcnt(0)
	v_add_f64 v[1:2], s[0:1], v[1:2]
	s_load_dwordx2 s[0:1], s[4:5], 0x0
	s_waitcnt lgkmcnt(0)
	global_store_dwordx2 v0, v[1:2], s[0:1]
.LBB3_2:
	s_endpgm
	.section	.rodata,"a",@progbits
	.p2align	6, 0x0
	.amdhsa_kernel _ZN9rocsolver6v33100L6iota_nIdEEvPT_jS2_
		.amdhsa_group_segment_fixed_size 0
		.amdhsa_private_segment_fixed_size 0
		.amdhsa_kernarg_size 24
		.amdhsa_user_sgpr_count 6
		.amdhsa_user_sgpr_private_segment_buffer 1
		.amdhsa_user_sgpr_dispatch_ptr 0
		.amdhsa_user_sgpr_queue_ptr 0
		.amdhsa_user_sgpr_kernarg_segment_ptr 1
		.amdhsa_user_sgpr_dispatch_id 0
		.amdhsa_user_sgpr_flat_scratch_init 0
		.amdhsa_user_sgpr_private_segment_size 0
		.amdhsa_wavefront_size32 1
		.amdhsa_uses_dynamic_stack 0
		.amdhsa_system_sgpr_private_segment_wavefront_offset 0
		.amdhsa_system_sgpr_workgroup_id_x 1
		.amdhsa_system_sgpr_workgroup_id_y 0
		.amdhsa_system_sgpr_workgroup_id_z 0
		.amdhsa_system_sgpr_workgroup_info 0
		.amdhsa_system_vgpr_workitem_id 0
		.amdhsa_next_free_vgpr 3
		.amdhsa_next_free_sgpr 6
		.amdhsa_reserve_vcc 1
		.amdhsa_reserve_flat_scratch 0
		.amdhsa_float_round_mode_32 0
		.amdhsa_float_round_mode_16_64 0
		.amdhsa_float_denorm_mode_32 3
		.amdhsa_float_denorm_mode_16_64 3
		.amdhsa_dx10_clamp 1
		.amdhsa_ieee_mode 1
		.amdhsa_fp16_overflow 0
		.amdhsa_workgroup_processor_mode 1
		.amdhsa_memory_ordered 1
		.amdhsa_forward_progress 1
		.amdhsa_shared_vgpr_count 0
		.amdhsa_exception_fp_ieee_invalid_op 0
		.amdhsa_exception_fp_denorm_src 0
		.amdhsa_exception_fp_ieee_div_zero 0
		.amdhsa_exception_fp_ieee_overflow 0
		.amdhsa_exception_fp_ieee_underflow 0
		.amdhsa_exception_fp_ieee_inexact 0
		.amdhsa_exception_int_div_zero 0
	.end_amdhsa_kernel
	.section	.text._ZN9rocsolver6v33100L6iota_nIdEEvPT_jS2_,"axG",@progbits,_ZN9rocsolver6v33100L6iota_nIdEEvPT_jS2_,comdat
.Lfunc_end3:
	.size	_ZN9rocsolver6v33100L6iota_nIdEEvPT_jS2_, .Lfunc_end3-_ZN9rocsolver6v33100L6iota_nIdEEvPT_jS2_
                                        ; -- End function
	.set _ZN9rocsolver6v33100L6iota_nIdEEvPT_jS2_.num_vgpr, 3
	.set _ZN9rocsolver6v33100L6iota_nIdEEvPT_jS2_.num_agpr, 0
	.set _ZN9rocsolver6v33100L6iota_nIdEEvPT_jS2_.numbered_sgpr, 6
	.set _ZN9rocsolver6v33100L6iota_nIdEEvPT_jS2_.num_named_barrier, 0
	.set _ZN9rocsolver6v33100L6iota_nIdEEvPT_jS2_.private_seg_size, 0
	.set _ZN9rocsolver6v33100L6iota_nIdEEvPT_jS2_.uses_vcc, 1
	.set _ZN9rocsolver6v33100L6iota_nIdEEvPT_jS2_.uses_flat_scratch, 0
	.set _ZN9rocsolver6v33100L6iota_nIdEEvPT_jS2_.has_dyn_sized_stack, 0
	.set _ZN9rocsolver6v33100L6iota_nIdEEvPT_jS2_.has_recursion, 0
	.set _ZN9rocsolver6v33100L6iota_nIdEEvPT_jS2_.has_indirect_call, 0
	.section	.AMDGPU.csdata,"",@progbits
; Kernel info:
; codeLenInByte = 76
; TotalNumSgprs: 8
; NumVgprs: 3
; ScratchSize: 0
; MemoryBound: 0
; FloatMode: 240
; IeeeMode: 1
; LDSByteSize: 0 bytes/workgroup (compile time only)
; SGPRBlocks: 0
; VGPRBlocks: 0
; NumSGPRsForWavesPerEU: 8
; NumVGPRsForWavesPerEU: 3
; Occupancy: 16
; WaveLimiterHint : 0
; COMPUTE_PGM_RSRC2:SCRATCH_EN: 0
; COMPUTE_PGM_RSRC2:USER_SGPR: 6
; COMPUTE_PGM_RSRC2:TRAP_HANDLER: 0
; COMPUTE_PGM_RSRC2:TGID_X_EN: 1
; COMPUTE_PGM_RSRC2:TGID_Y_EN: 0
; COMPUTE_PGM_RSRC2:TGID_Z_EN: 0
; COMPUTE_PGM_RSRC2:TIDIG_COMP_CNT: 0
	.section	.text._ZN9rocsolver6v33100L16larf_left_kernelILi1024EdiPdEEvT1_S3_T2_lS3_lPKT0_lS4_lS3_l,"axG",@progbits,_ZN9rocsolver6v33100L16larf_left_kernelILi1024EdiPdEEvT1_S3_T2_lS3_lPKT0_lS4_lS3_l,comdat
	.globl	_ZN9rocsolver6v33100L16larf_left_kernelILi1024EdiPdEEvT1_S3_T2_lS3_lPKT0_lS4_lS3_l ; -- Begin function _ZN9rocsolver6v33100L16larf_left_kernelILi1024EdiPdEEvT1_S3_T2_lS3_lPKT0_lS4_lS3_l
	.p2align	8
	.type	_ZN9rocsolver6v33100L16larf_left_kernelILi1024EdiPdEEvT1_S3_T2_lS3_lPKT0_lS4_lS3_l,@function
_ZN9rocsolver6v33100L16larf_left_kernelILi1024EdiPdEEvT1_S3_T2_lS3_lPKT0_lS4_lS3_l: ; @_ZN9rocsolver6v33100L16larf_left_kernelILi1024EdiPdEEvT1_S3_T2_lS3_lPKT0_lS4_lS3_l
; %bb.0:
	s_clause 0x4
	s_load_dword s9, s[4:5], 0x0
	s_load_dwordx2 s[0:1], s[4:5], 0x50
	s_load_dword s2, s[4:5], 0x48
	s_load_dwordx2 s[10:11], s[4:5], 0x40
	s_load_dwordx8 s[12:19], s[4:5], 0x20
	v_mov_b32_e32 v1, 0
	v_mov_b32_e32 v2, 0
	v_lshlrev_b32_e32 v5, 3, v0
	s_ashr_i32 s25, s8, 31
	s_waitcnt lgkmcnt(0)
	v_cmp_gt_i32_e32 vcc_lo, s9, v0
	s_mul_i32 s22, s0, s25
	s_mul_hi_u32 s24, s0, s8
	s_mul_i32 s23, s1, s8
	s_mul_i32 s6, s0, s8
	s_mul_hi_i32 s21, s7, s2
	s_mul_i32 s20, s7, s2
	s_and_saveexec_b32 s26, vcc_lo
	s_cbranch_execz .LBB4_6
; %bb.1:
	s_clause 0x1
	s_load_dword s28, s[4:5], 0x18
	s_load_dwordx4 s[0:3], s[4:5], 0x8
	s_sub_i32 s5, 1, s9
	s_mul_i32 s7, s12, s25
	s_mul_hi_u32 s30, s12, s8
	s_mul_i32 s4, s12, s8
	s_mul_i32 s31, s13, s8
	v_add3_u32 v6, v5, 0, 0x100
	v_mov_b32_e32 v4, v0
	v_mov_b32_e32 v3, v6
	s_waitcnt lgkmcnt(0)
	s_ashr_i32 s29, s28, 31
	v_mad_i64_i32 v[1:2], null, s28, v0, 0
	v_cmp_lt_i64_e64 s27, s[28:29], 1
	s_mul_i32 s5, s28, s5
	s_and_b32 s12, s27, exec_lo
	s_cselect_b32 s12, s5, 0
	s_add_i32 s5, s30, s7
	s_ashr_i32 s13, s12, 31
	s_add_i32 s5, s5, s31
	s_lshl_b64 s[12:13], s[12:13], 3
	s_lshl_b64 s[2:3], s[2:3], 3
	s_lshl_b64 s[4:5], s[4:5], 3
	v_lshlrev_b64 v[1:2], 3, v[1:2]
	s_add_u32 s0, s0, s12
	s_addc_u32 s1, s1, s13
	s_add_u32 s0, s0, s2
	s_addc_u32 s1, s1, s3
	;; [unrolled: 2-line block ×3, first 2 shown]
	v_add_co_u32 v1, s0, s0, v1
	v_add_co_ci_u32_e64 v2, null, s1, v2, s0
	s_mov_b32 s4, 0
	s_lshl_b64 s[2:3], s[28:29], 13
	.p2align	6
.LBB4_2:                                ; =>This Inner Loop Header: Depth=1
	global_load_dwordx2 v[7:8], v[1:2], off
	v_add_nc_u32_e32 v4, 0x400, v4
	v_add_co_u32 v1, s0, v1, s2
	v_add_co_ci_u32_e64 v2, null, s3, v2, s0
	v_cmp_le_i32_e64 s1, s9, v4
	s_or_b32 s4, s1, s4
	s_waitcnt vmcnt(0)
	ds_write_b64 v3, v[7:8]
	v_add_nc_u32_e32 v3, 0x2000, v3
	s_andn2_b32 exec_lo, exec_lo, s4
	s_cbranch_execnz .LBB4_2
; %bb.3:
	s_or_b32 exec_lo, exec_lo, s4
	s_add_i32 s0, s24, s22
	v_lshlrev_b32_e32 v1, 3, v0
	s_add_i32 s7, s0, s23
	s_lshl_b64 s[0:1], s[20:21], 3
	s_lshl_b64 s[2:3], s[6:7], 3
	v_mov_b32_e32 v7, v0
	s_add_u32 s2, s2, s0
	s_addc_u32 s3, s3, s1
	s_lshl_b64 s[0:1], s[10:11], 3
	s_add_u32 s0, s2, s0
	s_addc_u32 s1, s3, s1
	s_add_u32 s0, s18, s0
	s_addc_u32 s1, s19, s1
	v_add_co_u32 v3, s0, s0, v1
	v_mov_b32_e32 v1, 0
	v_add_co_ci_u32_e64 v4, null, s1, 0, s0
	v_mov_b32_e32 v2, 0
	s_mov_b32 s2, 0
	.p2align	6
.LBB4_4:                                ; =>This Inner Loop Header: Depth=1
	global_load_dwordx2 v[8:9], v[3:4], off
	ds_read_b64 v[10:11], v6
	v_add_nc_u32_e32 v7, 0x400, v7
	v_add_co_u32 v3, s1, 0x2000, v3
	v_add_nc_u32_e32 v6, 0x2000, v6
	v_add_co_ci_u32_e64 v4, null, 0, v4, s1
	v_cmp_le_i32_e64 s0, s9, v7
	s_or_b32 s2, s0, s2
	s_waitcnt vmcnt(0) lgkmcnt(0)
	v_fma_f64 v[1:2], v[8:9], v[10:11], v[1:2]
	s_andn2_b32 exec_lo, exec_lo, s2
	s_cbranch_execnz .LBB4_4
; %bb.5:
	s_or_b32 exec_lo, exec_lo, s2
.LBB4_6:
	s_or_b32 exec_lo, exec_lo, s26
	v_mbcnt_lo_u32_b32 v6, -1, 0
	s_mov_b32 s1, exec_lo
	v_cmp_ne_u32_e64 s0, 31, v6
	v_add_co_ci_u32_e64 v3, null, 0, v6, s0
	v_cmp_gt_u32_e64 s0, 30, v6
	v_lshlrev_b32_e32 v4, 2, v3
	ds_bpermute_b32 v3, v4, v1
	ds_bpermute_b32 v4, v4, v2
	s_waitcnt lgkmcnt(0)
	v_add_f64 v[1:2], v[1:2], v[3:4]
	v_cndmask_b32_e64 v3, 0, 2, s0
	v_cmp_gt_u32_e64 s0, 28, v6
	v_add_lshl_u32 v4, v3, v6, 2
	ds_bpermute_b32 v3, v4, v1
	ds_bpermute_b32 v4, v4, v2
	s_waitcnt lgkmcnt(0)
	v_add_f64 v[1:2], v[1:2], v[3:4]
	v_cndmask_b32_e64 v3, 0, 4, s0
	v_cmp_gt_u32_e64 s0, 24, v6
	v_add_lshl_u32 v4, v3, v6, 2
	ds_bpermute_b32 v3, v4, v1
	ds_bpermute_b32 v4, v4, v2
	s_waitcnt lgkmcnt(0)
	v_add_f64 v[1:2], v[1:2], v[3:4]
	v_cndmask_b32_e64 v3, 0, 8, s0
	v_add_lshl_u32 v4, v3, v6, 2
	ds_bpermute_b32 v3, v4, v1
	ds_bpermute_b32 v4, v4, v2
	s_waitcnt lgkmcnt(0)
	v_add_f64 v[1:2], v[1:2], v[3:4]
	v_lshl_or_b32 v4, v6, 2, 64
	ds_bpermute_b32 v3, v4, v1
	ds_bpermute_b32 v4, v4, v2
	s_waitcnt lgkmcnt(0)
	v_add_f64 v[1:2], v[1:2], v[3:4]
	v_and_b32_e32 v3, 31, v0
	v_cmpx_eq_u32_e32 0, v3
; %bb.7:
	v_lshrrev_b32_e32 v3, 2, v0
	v_add_nc_u32_e32 v3, 0, v3
	ds_write_b64 v3, v[1:2]
; %bb.8:
	s_or_b32 exec_lo, exec_lo, s1
	s_mov_b32 s1, exec_lo
	s_waitcnt lgkmcnt(0)
	s_barrier
	buffer_gl0_inv
	v_cmpx_eq_u32_e32 0, v0
	s_cbranch_execz .LBB4_10
; %bb.9:
	v_mov_b32_e32 v14, 0
	ds_read2_b64 v[6:9], v14 offset0:1 offset1:2
	ds_read2_b64 v[10:13], v14 offset0:3 offset1:4
	s_waitcnt lgkmcnt(1)
	v_add_f64 v[1:2], v[1:2], v[6:7]
	v_add_f64 v[1:2], v[1:2], v[8:9]
	s_waitcnt lgkmcnt(0)
	v_add_f64 v[1:2], v[1:2], v[10:11]
	v_add_f64 v[10:11], v[1:2], v[12:13]
	ds_read2_b64 v[1:4], v14 offset0:5 offset1:6
	ds_read2_b64 v[6:9], v14 offset0:7 offset1:8
	s_waitcnt lgkmcnt(1)
	v_add_f64 v[1:2], v[10:11], v[1:2]
	v_add_f64 v[1:2], v[1:2], v[3:4]
	s_waitcnt lgkmcnt(0)
	v_add_f64 v[1:2], v[1:2], v[6:7]
	v_add_f64 v[10:11], v[1:2], v[8:9]
	;; [unrolled: 8-line block ×7, first 2 shown]
	ds_read2_b64 v[1:4], v14 offset0:29 offset1:30
	ds_read_b64 v[8:9], v14 offset:248
	s_waitcnt lgkmcnt(1)
	v_add_f64 v[1:2], v[6:7], v[1:2]
	v_add_f64 v[1:2], v[1:2], v[3:4]
	s_waitcnt lgkmcnt(0)
	v_add_f64 v[1:2], v[1:2], v[8:9]
	ds_write_b64 v14, v[1:2]
.LBB4_10:
	s_or_b32 exec_lo, exec_lo, s1
	s_waitcnt lgkmcnt(0)
	s_barrier
	buffer_gl0_inv
	s_and_saveexec_b32 s0, vcc_lo
	s_cbranch_execz .LBB4_13
; %bb.11:
	s_mul_i32 s0, s16, s25
	s_mul_hi_u32 s1, s16, s8
	s_mul_i32 s2, s17, s8
	s_add_i32 s1, s1, s0
	s_mul_i32 s0, s16, s8
	s_add_i32 s1, s1, s2
	v_mov_b32_e32 v1, 0
	s_lshl_b64 s[0:1], s[0:1], 3
	v_add3_u32 v6, v5, 0, 0x100
	s_add_u32 s0, s14, s0
	s_addc_u32 s1, s15, s1
	ds_read_b64 v[1:2], v1
	s_load_dwordx2 s[0:1], s[0:1], 0x0
	s_add_i32 s2, s24, s22
	s_add_i32 s7, s2, s23
	s_lshl_b64 s[2:3], s[20:21], 3
	s_waitcnt lgkmcnt(0)
	v_mul_f64 v[1:2], v[1:2], -s[0:1]
	s_lshl_b64 s[0:1], s[6:7], 3
	s_add_u32 s2, s0, s2
	s_addc_u32 s3, s1, s3
	s_lshl_b64 s[0:1], s[10:11], 3
	s_add_u32 s0, s2, s0
	s_addc_u32 s1, s3, s1
	s_add_u32 s0, s18, s0
	s_addc_u32 s1, s19, s1
	v_add_co_u32 v3, s0, s0, v5
	v_add_co_ci_u32_e64 v4, null, s1, 0, s0
	s_mov_b32 s1, 0
	.p2align	6
.LBB4_12:                               ; =>This Inner Loop Header: Depth=1
	global_load_dwordx2 v[7:8], v[3:4], off
	ds_read_b64 v[9:10], v6
	v_add_nc_u32_e32 v0, 0x400, v0
	v_add_nc_u32_e32 v6, 0x2000, v6
	v_cmp_le_i32_e32 vcc_lo, s9, v0
	s_or_b32 s1, vcc_lo, s1
	s_waitcnt vmcnt(0) lgkmcnt(0)
	v_fma_f64 v[7:8], v[1:2], v[9:10], v[7:8]
	global_store_dwordx2 v[3:4], v[7:8], off
	v_add_co_u32 v3, s0, 0x2000, v3
	v_add_co_ci_u32_e64 v4, null, 0, v4, s0
	s_andn2_b32 exec_lo, exec_lo, s1
	s_cbranch_execnz .LBB4_12
.LBB4_13:
	s_endpgm
	.section	.rodata,"a",@progbits
	.p2align	6, 0x0
	.amdhsa_kernel _ZN9rocsolver6v33100L16larf_left_kernelILi1024EdiPdEEvT1_S3_T2_lS3_lPKT0_lS4_lS3_l
		.amdhsa_group_segment_fixed_size 0
		.amdhsa_private_segment_fixed_size 0
		.amdhsa_kernarg_size 88
		.amdhsa_user_sgpr_count 6
		.amdhsa_user_sgpr_private_segment_buffer 1
		.amdhsa_user_sgpr_dispatch_ptr 0
		.amdhsa_user_sgpr_queue_ptr 0
		.amdhsa_user_sgpr_kernarg_segment_ptr 1
		.amdhsa_user_sgpr_dispatch_id 0
		.amdhsa_user_sgpr_flat_scratch_init 0
		.amdhsa_user_sgpr_private_segment_size 0
		.amdhsa_wavefront_size32 1
		.amdhsa_uses_dynamic_stack 0
		.amdhsa_system_sgpr_private_segment_wavefront_offset 0
		.amdhsa_system_sgpr_workgroup_id_x 1
		.amdhsa_system_sgpr_workgroup_id_y 1
		.amdhsa_system_sgpr_workgroup_id_z 1
		.amdhsa_system_sgpr_workgroup_info 0
		.amdhsa_system_vgpr_workitem_id 0
		.amdhsa_next_free_vgpr 15
		.amdhsa_next_free_sgpr 32
		.amdhsa_reserve_vcc 1
		.amdhsa_reserve_flat_scratch 0
		.amdhsa_float_round_mode_32 0
		.amdhsa_float_round_mode_16_64 0
		.amdhsa_float_denorm_mode_32 3
		.amdhsa_float_denorm_mode_16_64 3
		.amdhsa_dx10_clamp 1
		.amdhsa_ieee_mode 1
		.amdhsa_fp16_overflow 0
		.amdhsa_workgroup_processor_mode 1
		.amdhsa_memory_ordered 1
		.amdhsa_forward_progress 1
		.amdhsa_shared_vgpr_count 0
		.amdhsa_exception_fp_ieee_invalid_op 0
		.amdhsa_exception_fp_denorm_src 0
		.amdhsa_exception_fp_ieee_div_zero 0
		.amdhsa_exception_fp_ieee_overflow 0
		.amdhsa_exception_fp_ieee_underflow 0
		.amdhsa_exception_fp_ieee_inexact 0
		.amdhsa_exception_int_div_zero 0
	.end_amdhsa_kernel
	.section	.text._ZN9rocsolver6v33100L16larf_left_kernelILi1024EdiPdEEvT1_S3_T2_lS3_lPKT0_lS4_lS3_l,"axG",@progbits,_ZN9rocsolver6v33100L16larf_left_kernelILi1024EdiPdEEvT1_S3_T2_lS3_lPKT0_lS4_lS3_l,comdat
.Lfunc_end4:
	.size	_ZN9rocsolver6v33100L16larf_left_kernelILi1024EdiPdEEvT1_S3_T2_lS3_lPKT0_lS4_lS3_l, .Lfunc_end4-_ZN9rocsolver6v33100L16larf_left_kernelILi1024EdiPdEEvT1_S3_T2_lS3_lPKT0_lS4_lS3_l
                                        ; -- End function
	.set _ZN9rocsolver6v33100L16larf_left_kernelILi1024EdiPdEEvT1_S3_T2_lS3_lPKT0_lS4_lS3_l.num_vgpr, 15
	.set _ZN9rocsolver6v33100L16larf_left_kernelILi1024EdiPdEEvT1_S3_T2_lS3_lPKT0_lS4_lS3_l.num_agpr, 0
	.set _ZN9rocsolver6v33100L16larf_left_kernelILi1024EdiPdEEvT1_S3_T2_lS3_lPKT0_lS4_lS3_l.numbered_sgpr, 32
	.set _ZN9rocsolver6v33100L16larf_left_kernelILi1024EdiPdEEvT1_S3_T2_lS3_lPKT0_lS4_lS3_l.num_named_barrier, 0
	.set _ZN9rocsolver6v33100L16larf_left_kernelILi1024EdiPdEEvT1_S3_T2_lS3_lPKT0_lS4_lS3_l.private_seg_size, 0
	.set _ZN9rocsolver6v33100L16larf_left_kernelILi1024EdiPdEEvT1_S3_T2_lS3_lPKT0_lS4_lS3_l.uses_vcc, 1
	.set _ZN9rocsolver6v33100L16larf_left_kernelILi1024EdiPdEEvT1_S3_T2_lS3_lPKT0_lS4_lS3_l.uses_flat_scratch, 0
	.set _ZN9rocsolver6v33100L16larf_left_kernelILi1024EdiPdEEvT1_S3_T2_lS3_lPKT0_lS4_lS3_l.has_dyn_sized_stack, 0
	.set _ZN9rocsolver6v33100L16larf_left_kernelILi1024EdiPdEEvT1_S3_T2_lS3_lPKT0_lS4_lS3_l.has_recursion, 0
	.set _ZN9rocsolver6v33100L16larf_left_kernelILi1024EdiPdEEvT1_S3_T2_lS3_lPKT0_lS4_lS3_l.has_indirect_call, 0
	.section	.AMDGPU.csdata,"",@progbits
; Kernel info:
; codeLenInByte = 1628
; TotalNumSgprs: 34
; NumVgprs: 15
; ScratchSize: 0
; MemoryBound: 0
; FloatMode: 240
; IeeeMode: 1
; LDSByteSize: 0 bytes/workgroup (compile time only)
; SGPRBlocks: 0
; VGPRBlocks: 1
; NumSGPRsForWavesPerEU: 34
; NumVGPRsForWavesPerEU: 15
; Occupancy: 16
; WaveLimiterHint : 0
; COMPUTE_PGM_RSRC2:SCRATCH_EN: 0
; COMPUTE_PGM_RSRC2:USER_SGPR: 6
; COMPUTE_PGM_RSRC2:TRAP_HANDLER: 0
; COMPUTE_PGM_RSRC2:TGID_X_EN: 1
; COMPUTE_PGM_RSRC2:TGID_Y_EN: 1
; COMPUTE_PGM_RSRC2:TGID_Z_EN: 1
; COMPUTE_PGM_RSRC2:TIDIG_COMP_CNT: 0
	.section	.text._ZN9rocsolver6v33100L17larf_right_kernelILi1024EdiPdEEvT1_S3_T2_lS3_lPKT0_lS4_lS3_l,"axG",@progbits,_ZN9rocsolver6v33100L17larf_right_kernelILi1024EdiPdEEvT1_S3_T2_lS3_lPKT0_lS4_lS3_l,comdat
	.globl	_ZN9rocsolver6v33100L17larf_right_kernelILi1024EdiPdEEvT1_S3_T2_lS3_lPKT0_lS4_lS3_l ; -- Begin function _ZN9rocsolver6v33100L17larf_right_kernelILi1024EdiPdEEvT1_S3_T2_lS3_lPKT0_lS4_lS3_l
	.p2align	8
	.type	_ZN9rocsolver6v33100L17larf_right_kernelILi1024EdiPdEEvT1_S3_T2_lS3_lPKT0_lS4_lS3_l,@function
_ZN9rocsolver6v33100L17larf_right_kernelILi1024EdiPdEEvT1_S3_T2_lS3_lPKT0_lS4_lS3_l: ; @_ZN9rocsolver6v33100L17larf_right_kernelILi1024EdiPdEEvT1_S3_T2_lS3_lPKT0_lS4_lS3_l
; %bb.0:
	s_clause 0x4
	s_load_dword s9, s[4:5], 0x4
	s_load_dwordx2 s[0:1], s[4:5], 0x50
	s_load_dwordx2 s[20:21], s[4:5], 0x40
	s_load_dword s6, s[4:5], 0x48
	s_load_dwordx8 s[12:19], s[4:5], 0x20
	v_mov_b32_e32 v1, 0
	v_mov_b32_e32 v2, 0
	v_lshlrev_b32_e32 v5, 3, v0
	s_ashr_i32 s27, s8, 31
	s_mov_b32 s10, s7
	s_ashr_i32 s11, s7, 31
	s_waitcnt lgkmcnt(0)
	v_cmp_gt_i32_e32 vcc_lo, s9, v0
	s_mul_i32 s24, s0, s27
	s_mul_hi_u32 s26, s0, s8
	s_mul_i32 s25, s1, s8
	s_mul_i32 s22, s0, s8
	s_and_saveexec_b32 s28, vcc_lo
	s_cbranch_execz .LBB5_6
; %bb.1:
	s_clause 0x1
	s_load_dword s30, s[4:5], 0x18
	s_load_dwordx4 s[0:3], s[4:5], 0x8
	s_sub_i32 s5, 1, s9
	s_mul_i32 s7, s12, s27
	s_mul_hi_u32 s29, s12, s8
	s_mul_i32 s4, s12, s8
	s_mul_i32 s33, s13, s8
	v_add3_u32 v6, v5, 0, 0x100
	v_mov_b32_e32 v4, v0
	v_mov_b32_e32 v3, v6
	s_waitcnt lgkmcnt(0)
	s_ashr_i32 s31, s30, 31
	v_mad_i64_i32 v[1:2], null, s30, v0, 0
	v_cmp_lt_i64_e64 s23, s[30:31], 1
	s_mul_i32 s5, s30, s5
	s_and_b32 s12, s23, exec_lo
	s_cselect_b32 s12, s5, 0
	s_add_i32 s5, s29, s7
	s_ashr_i32 s13, s12, 31
	s_add_i32 s5, s5, s33
	s_lshl_b64 s[12:13], s[12:13], 3
	s_lshl_b64 s[2:3], s[2:3], 3
	;; [unrolled: 1-line block ×3, first 2 shown]
	v_lshlrev_b64 v[1:2], 3, v[1:2]
	s_add_u32 s0, s0, s12
	s_addc_u32 s1, s1, s13
	s_add_u32 s0, s0, s2
	s_addc_u32 s1, s1, s3
	;; [unrolled: 2-line block ×3, first 2 shown]
	v_add_co_u32 v1, s0, s0, v1
	v_add_co_ci_u32_e64 v2, null, s1, v2, s0
	s_mov_b32 s4, 0
	s_lshl_b64 s[2:3], s[30:31], 13
	.p2align	6
.LBB5_2:                                ; =>This Inner Loop Header: Depth=1
	global_load_dwordx2 v[7:8], v[1:2], off
	v_add_nc_u32_e32 v4, 0x400, v4
	v_add_co_u32 v1, s0, v1, s2
	v_add_co_ci_u32_e64 v2, null, s3, v2, s0
	v_cmp_le_i32_e64 s1, s9, v4
	s_or_b32 s4, s1, s4
	s_waitcnt vmcnt(0)
	ds_write_b64 v3, v[7:8]
	v_add_nc_u32_e32 v3, 0x2000, v3
	s_andn2_b32 exec_lo, exec_lo, s4
	s_cbranch_execnz .LBB5_2
; %bb.3:
	s_or_b32 exec_lo, exec_lo, s4
	v_mad_i64_i32 v[1:2], null, s6, v0, 0
	s_add_i32 s2, s26, s24
	s_ashr_i32 s7, s6, 31
	s_add_i32 s23, s2, s25
	s_lshl_b64 s[2:3], s[10:11], 3
	s_lshl_b64 s[0:1], s[20:21], 3
	;; [unrolled: 1-line block ×3, first 2 shown]
	v_lshlrev_b64 v[1:2], 3, v[1:2]
	s_add_u32 s2, s18, s2
	s_addc_u32 s3, s19, s3
	s_add_u32 s0, s2, s0
	s_addc_u32 s1, s3, s1
	;; [unrolled: 2-line block ×3, first 2 shown]
	v_add_co_u32 v3, s0, s0, v1
	v_add_co_ci_u32_e64 v4, null, s1, v2, s0
	v_mov_b32_e32 v1, 0
	v_mov_b32_e32 v2, 0
	;; [unrolled: 1-line block ×3, first 2 shown]
	s_lshl_b64 s[2:3], s[6:7], 13
	s_mov_b32 s4, 0
	.p2align	6
.LBB5_4:                                ; =>This Inner Loop Header: Depth=1
	global_load_dwordx2 v[8:9], v[3:4], off
	ds_read_b64 v[10:11], v6
	v_add_nc_u32_e32 v7, 0x400, v7
	v_add_co_u32 v3, s1, v3, s2
	v_add_nc_u32_e32 v6, 0x2000, v6
	v_add_co_ci_u32_e64 v4, null, s3, v4, s1
	v_cmp_le_i32_e64 s0, s9, v7
	s_or_b32 s4, s0, s4
	s_waitcnt vmcnt(0) lgkmcnt(0)
	v_fma_f64 v[1:2], v[8:9], v[10:11], v[1:2]
	s_andn2_b32 exec_lo, exec_lo, s4
	s_cbranch_execnz .LBB5_4
; %bb.5:
	s_or_b32 exec_lo, exec_lo, s4
.LBB5_6:
	s_or_b32 exec_lo, exec_lo, s28
	v_mbcnt_lo_u32_b32 v6, -1, 0
	s_mov_b32 s1, exec_lo
	v_cmp_ne_u32_e64 s0, 31, v6
	v_add_co_ci_u32_e64 v3, null, 0, v6, s0
	v_cmp_gt_u32_e64 s0, 30, v6
	v_lshlrev_b32_e32 v4, 2, v3
	ds_bpermute_b32 v3, v4, v1
	ds_bpermute_b32 v4, v4, v2
	s_waitcnt lgkmcnt(0)
	v_add_f64 v[1:2], v[1:2], v[3:4]
	v_cndmask_b32_e64 v3, 0, 2, s0
	v_cmp_gt_u32_e64 s0, 28, v6
	v_add_lshl_u32 v4, v3, v6, 2
	ds_bpermute_b32 v3, v4, v1
	ds_bpermute_b32 v4, v4, v2
	s_waitcnt lgkmcnt(0)
	v_add_f64 v[1:2], v[1:2], v[3:4]
	v_cndmask_b32_e64 v3, 0, 4, s0
	v_cmp_gt_u32_e64 s0, 24, v6
	v_add_lshl_u32 v4, v3, v6, 2
	ds_bpermute_b32 v3, v4, v1
	ds_bpermute_b32 v4, v4, v2
	s_waitcnt lgkmcnt(0)
	v_add_f64 v[1:2], v[1:2], v[3:4]
	v_cndmask_b32_e64 v3, 0, 8, s0
	v_add_lshl_u32 v4, v3, v6, 2
	ds_bpermute_b32 v3, v4, v1
	ds_bpermute_b32 v4, v4, v2
	s_waitcnt lgkmcnt(0)
	v_add_f64 v[1:2], v[1:2], v[3:4]
	v_lshl_or_b32 v4, v6, 2, 64
	ds_bpermute_b32 v3, v4, v1
	ds_bpermute_b32 v4, v4, v2
	s_waitcnt lgkmcnt(0)
	v_add_f64 v[1:2], v[1:2], v[3:4]
	v_and_b32_e32 v3, 31, v0
	v_cmpx_eq_u32_e32 0, v3
; %bb.7:
	v_lshrrev_b32_e32 v3, 2, v0
	v_add_nc_u32_e32 v3, 0, v3
	ds_write_b64 v3, v[1:2]
; %bb.8:
	s_or_b32 exec_lo, exec_lo, s1
	s_mov_b32 s1, exec_lo
	s_waitcnt lgkmcnt(0)
	s_barrier
	buffer_gl0_inv
	v_cmpx_eq_u32_e32 0, v0
	s_cbranch_execz .LBB5_10
; %bb.9:
	v_mov_b32_e32 v14, 0
	ds_read2_b64 v[6:9], v14 offset0:1 offset1:2
	ds_read2_b64 v[10:13], v14 offset0:3 offset1:4
	s_waitcnt lgkmcnt(1)
	v_add_f64 v[1:2], v[1:2], v[6:7]
	v_add_f64 v[1:2], v[1:2], v[8:9]
	s_waitcnt lgkmcnt(0)
	v_add_f64 v[1:2], v[1:2], v[10:11]
	v_add_f64 v[10:11], v[1:2], v[12:13]
	ds_read2_b64 v[1:4], v14 offset0:5 offset1:6
	ds_read2_b64 v[6:9], v14 offset0:7 offset1:8
	s_waitcnt lgkmcnt(1)
	v_add_f64 v[1:2], v[10:11], v[1:2]
	v_add_f64 v[1:2], v[1:2], v[3:4]
	s_waitcnt lgkmcnt(0)
	v_add_f64 v[1:2], v[1:2], v[6:7]
	v_add_f64 v[10:11], v[1:2], v[8:9]
	;; [unrolled: 8-line block ×7, first 2 shown]
	ds_read2_b64 v[1:4], v14 offset0:29 offset1:30
	ds_read_b64 v[8:9], v14 offset:248
	s_waitcnt lgkmcnt(1)
	v_add_f64 v[1:2], v[6:7], v[1:2]
	v_add_f64 v[1:2], v[1:2], v[3:4]
	s_waitcnt lgkmcnt(0)
	v_add_f64 v[1:2], v[1:2], v[8:9]
	ds_write_b64 v14, v[1:2]
.LBB5_10:
	s_or_b32 exec_lo, exec_lo, s1
	s_waitcnt lgkmcnt(0)
	s_barrier
	buffer_gl0_inv
	s_and_saveexec_b32 s0, vcc_lo
	s_cbranch_execz .LBB5_13
; %bb.11:
	s_mul_i32 s0, s16, s27
	s_mul_hi_u32 s1, s16, s8
	s_mul_i32 s2, s17, s8
	s_add_i32 s0, s1, s0
	v_mov_b32_e32 v1, 0
	s_add_i32 s1, s0, s2
	s_mul_i32 s0, s16, s8
	v_mad_i64_i32 v[3:4], null, s6, v0, 0
	s_lshl_b64 s[0:1], s[0:1], 3
	ds_read_b64 v[1:2], v1
	s_add_u32 s0, s14, s0
	s_addc_u32 s1, s15, s1
	s_lshl_b64 s[2:3], s[10:11], 3
	s_load_dwordx2 s[0:1], s[0:1], 0x0
	s_ashr_i32 s7, s6, 31
	s_lshl_b64 s[4:5], s[20:21], 3
	v_lshlrev_b64 v[3:4], 3, v[3:4]
	v_add3_u32 v5, v5, 0, 0x100
	s_waitcnt lgkmcnt(0)
	v_mul_f64 v[1:2], v[1:2], -s[0:1]
	s_add_i32 s0, s26, s24
	s_add_i32 s23, s0, s25
	s_lshl_b64 s[0:1], s[22:23], 3
	s_add_u32 s2, s18, s2
	s_addc_u32 s3, s19, s3
	s_add_u32 s2, s2, s4
	s_addc_u32 s3, s3, s5
	;; [unrolled: 2-line block ×3, first 2 shown]
	v_add_co_u32 v3, vcc_lo, s0, v3
	v_add_co_ci_u32_e64 v4, null, s1, v4, vcc_lo
	s_mov_b32 s1, 0
	s_lshl_b64 s[2:3], s[6:7], 13
	.p2align	6
.LBB5_12:                               ; =>This Inner Loop Header: Depth=1
	global_load_dwordx2 v[6:7], v[3:4], off
	ds_read_b64 v[8:9], v5
	v_add_nc_u32_e32 v0, 0x400, v0
	v_add_nc_u32_e32 v5, 0x2000, v5
	v_cmp_le_i32_e32 vcc_lo, s9, v0
	s_or_b32 s1, vcc_lo, s1
	s_waitcnt vmcnt(0) lgkmcnt(0)
	v_fma_f64 v[6:7], v[1:2], v[8:9], v[6:7]
	global_store_dwordx2 v[3:4], v[6:7], off
	v_add_co_u32 v3, s0, v3, s2
	v_add_co_ci_u32_e64 v4, null, s3, v4, s0
	s_andn2_b32 exec_lo, exec_lo, s1
	s_cbranch_execnz .LBB5_12
.LBB5_13:
	s_endpgm
	.section	.rodata,"a",@progbits
	.p2align	6, 0x0
	.amdhsa_kernel _ZN9rocsolver6v33100L17larf_right_kernelILi1024EdiPdEEvT1_S3_T2_lS3_lPKT0_lS4_lS3_l
		.amdhsa_group_segment_fixed_size 0
		.amdhsa_private_segment_fixed_size 0
		.amdhsa_kernarg_size 88
		.amdhsa_user_sgpr_count 6
		.amdhsa_user_sgpr_private_segment_buffer 1
		.amdhsa_user_sgpr_dispatch_ptr 0
		.amdhsa_user_sgpr_queue_ptr 0
		.amdhsa_user_sgpr_kernarg_segment_ptr 1
		.amdhsa_user_sgpr_dispatch_id 0
		.amdhsa_user_sgpr_flat_scratch_init 0
		.amdhsa_user_sgpr_private_segment_size 0
		.amdhsa_wavefront_size32 1
		.amdhsa_uses_dynamic_stack 0
		.amdhsa_system_sgpr_private_segment_wavefront_offset 0
		.amdhsa_system_sgpr_workgroup_id_x 1
		.amdhsa_system_sgpr_workgroup_id_y 1
		.amdhsa_system_sgpr_workgroup_id_z 1
		.amdhsa_system_sgpr_workgroup_info 0
		.amdhsa_system_vgpr_workitem_id 0
		.amdhsa_next_free_vgpr 15
		.amdhsa_next_free_sgpr 34
		.amdhsa_reserve_vcc 1
		.amdhsa_reserve_flat_scratch 0
		.amdhsa_float_round_mode_32 0
		.amdhsa_float_round_mode_16_64 0
		.amdhsa_float_denorm_mode_32 3
		.amdhsa_float_denorm_mode_16_64 3
		.amdhsa_dx10_clamp 1
		.amdhsa_ieee_mode 1
		.amdhsa_fp16_overflow 0
		.amdhsa_workgroup_processor_mode 1
		.amdhsa_memory_ordered 1
		.amdhsa_forward_progress 1
		.amdhsa_shared_vgpr_count 0
		.amdhsa_exception_fp_ieee_invalid_op 0
		.amdhsa_exception_fp_denorm_src 0
		.amdhsa_exception_fp_ieee_div_zero 0
		.amdhsa_exception_fp_ieee_overflow 0
		.amdhsa_exception_fp_ieee_underflow 0
		.amdhsa_exception_fp_ieee_inexact 0
		.amdhsa_exception_int_div_zero 0
	.end_amdhsa_kernel
	.section	.text._ZN9rocsolver6v33100L17larf_right_kernelILi1024EdiPdEEvT1_S3_T2_lS3_lPKT0_lS4_lS3_l,"axG",@progbits,_ZN9rocsolver6v33100L17larf_right_kernelILi1024EdiPdEEvT1_S3_T2_lS3_lPKT0_lS4_lS3_l,comdat
.Lfunc_end5:
	.size	_ZN9rocsolver6v33100L17larf_right_kernelILi1024EdiPdEEvT1_S3_T2_lS3_lPKT0_lS4_lS3_l, .Lfunc_end5-_ZN9rocsolver6v33100L17larf_right_kernelILi1024EdiPdEEvT1_S3_T2_lS3_lPKT0_lS4_lS3_l
                                        ; -- End function
	.set _ZN9rocsolver6v33100L17larf_right_kernelILi1024EdiPdEEvT1_S3_T2_lS3_lPKT0_lS4_lS3_l.num_vgpr, 15
	.set _ZN9rocsolver6v33100L17larf_right_kernelILi1024EdiPdEEvT1_S3_T2_lS3_lPKT0_lS4_lS3_l.num_agpr, 0
	.set _ZN9rocsolver6v33100L17larf_right_kernelILi1024EdiPdEEvT1_S3_T2_lS3_lPKT0_lS4_lS3_l.numbered_sgpr, 34
	.set _ZN9rocsolver6v33100L17larf_right_kernelILi1024EdiPdEEvT1_S3_T2_lS3_lPKT0_lS4_lS3_l.num_named_barrier, 0
	.set _ZN9rocsolver6v33100L17larf_right_kernelILi1024EdiPdEEvT1_S3_T2_lS3_lPKT0_lS4_lS3_l.private_seg_size, 0
	.set _ZN9rocsolver6v33100L17larf_right_kernelILi1024EdiPdEEvT1_S3_T2_lS3_lPKT0_lS4_lS3_l.uses_vcc, 1
	.set _ZN9rocsolver6v33100L17larf_right_kernelILi1024EdiPdEEvT1_S3_T2_lS3_lPKT0_lS4_lS3_l.uses_flat_scratch, 0
	.set _ZN9rocsolver6v33100L17larf_right_kernelILi1024EdiPdEEvT1_S3_T2_lS3_lPKT0_lS4_lS3_l.has_dyn_sized_stack, 0
	.set _ZN9rocsolver6v33100L17larf_right_kernelILi1024EdiPdEEvT1_S3_T2_lS3_lPKT0_lS4_lS3_l.has_recursion, 0
	.set _ZN9rocsolver6v33100L17larf_right_kernelILi1024EdiPdEEvT1_S3_T2_lS3_lPKT0_lS4_lS3_l.has_indirect_call, 0
	.section	.AMDGPU.csdata,"",@progbits
; Kernel info:
; codeLenInByte = 1688
; TotalNumSgprs: 36
; NumVgprs: 15
; ScratchSize: 0
; MemoryBound: 0
; FloatMode: 240
; IeeeMode: 1
; LDSByteSize: 0 bytes/workgroup (compile time only)
; SGPRBlocks: 0
; VGPRBlocks: 1
; NumSGPRsForWavesPerEU: 36
; NumVGPRsForWavesPerEU: 15
; Occupancy: 16
; WaveLimiterHint : 0
; COMPUTE_PGM_RSRC2:SCRATCH_EN: 0
; COMPUTE_PGM_RSRC2:USER_SGPR: 6
; COMPUTE_PGM_RSRC2:TRAP_HANDLER: 0
; COMPUTE_PGM_RSRC2:TGID_X_EN: 1
; COMPUTE_PGM_RSRC2:TGID_Y_EN: 1
; COMPUTE_PGM_RSRC2:TGID_Z_EN: 1
; COMPUTE_PGM_RSRC2:TIDIG_COMP_CNT: 0
	.section	.text._ZN9rocsolver6v33100L6iota_nI19rocblas_complex_numIfEEEvPT_jS4_,"axG",@progbits,_ZN9rocsolver6v33100L6iota_nI19rocblas_complex_numIfEEEvPT_jS4_,comdat
	.globl	_ZN9rocsolver6v33100L6iota_nI19rocblas_complex_numIfEEEvPT_jS4_ ; -- Begin function _ZN9rocsolver6v33100L6iota_nI19rocblas_complex_numIfEEEvPT_jS4_
	.p2align	8
	.type	_ZN9rocsolver6v33100L6iota_nI19rocblas_complex_numIfEEEvPT_jS4_,@function
_ZN9rocsolver6v33100L6iota_nI19rocblas_complex_numIfEEEvPT_jS4_: ; @_ZN9rocsolver6v33100L6iota_nI19rocblas_complex_numIfEEEvPT_jS4_
; %bb.0:
	s_load_dword s0, s[4:5], 0x8
	s_waitcnt lgkmcnt(0)
	v_cmp_gt_u32_e32 vcc_lo, s0, v0
	s_and_saveexec_b32 s0, vcc_lo
	s_cbranch_execz .LBB6_2
; %bb.1:
	s_clause 0x1
	s_load_dwordx2 s[0:1], s[4:5], 0xc
	s_load_dwordx2 s[2:3], s[4:5], 0x0
	v_cvt_f32_ubyte0_e32 v1, v0
	v_lshlrev_b32_e32 v0, 3, v0
	s_waitcnt lgkmcnt(0)
	v_add_f32_e32 v1, s0, v1
	v_add_f32_e64 v2, s1, 0
	global_store_dwordx2 v0, v[1:2], s[2:3]
.LBB6_2:
	s_endpgm
	.section	.rodata,"a",@progbits
	.p2align	6, 0x0
	.amdhsa_kernel _ZN9rocsolver6v33100L6iota_nI19rocblas_complex_numIfEEEvPT_jS4_
		.amdhsa_group_segment_fixed_size 0
		.amdhsa_private_segment_fixed_size 0
		.amdhsa_kernarg_size 20
		.amdhsa_user_sgpr_count 6
		.amdhsa_user_sgpr_private_segment_buffer 1
		.amdhsa_user_sgpr_dispatch_ptr 0
		.amdhsa_user_sgpr_queue_ptr 0
		.amdhsa_user_sgpr_kernarg_segment_ptr 1
		.amdhsa_user_sgpr_dispatch_id 0
		.amdhsa_user_sgpr_flat_scratch_init 0
		.amdhsa_user_sgpr_private_segment_size 0
		.amdhsa_wavefront_size32 1
		.amdhsa_uses_dynamic_stack 0
		.amdhsa_system_sgpr_private_segment_wavefront_offset 0
		.amdhsa_system_sgpr_workgroup_id_x 1
		.amdhsa_system_sgpr_workgroup_id_y 0
		.amdhsa_system_sgpr_workgroup_id_z 0
		.amdhsa_system_sgpr_workgroup_info 0
		.amdhsa_system_vgpr_workitem_id 0
		.amdhsa_next_free_vgpr 3
		.amdhsa_next_free_sgpr 6
		.amdhsa_reserve_vcc 1
		.amdhsa_reserve_flat_scratch 0
		.amdhsa_float_round_mode_32 0
		.amdhsa_float_round_mode_16_64 0
		.amdhsa_float_denorm_mode_32 3
		.amdhsa_float_denorm_mode_16_64 3
		.amdhsa_dx10_clamp 1
		.amdhsa_ieee_mode 1
		.amdhsa_fp16_overflow 0
		.amdhsa_workgroup_processor_mode 1
		.amdhsa_memory_ordered 1
		.amdhsa_forward_progress 1
		.amdhsa_shared_vgpr_count 0
		.amdhsa_exception_fp_ieee_invalid_op 0
		.amdhsa_exception_fp_denorm_src 0
		.amdhsa_exception_fp_ieee_div_zero 0
		.amdhsa_exception_fp_ieee_overflow 0
		.amdhsa_exception_fp_ieee_underflow 0
		.amdhsa_exception_fp_ieee_inexact 0
		.amdhsa_exception_int_div_zero 0
	.end_amdhsa_kernel
	.section	.text._ZN9rocsolver6v33100L6iota_nI19rocblas_complex_numIfEEEvPT_jS4_,"axG",@progbits,_ZN9rocsolver6v33100L6iota_nI19rocblas_complex_numIfEEEvPT_jS4_,comdat
.Lfunc_end6:
	.size	_ZN9rocsolver6v33100L6iota_nI19rocblas_complex_numIfEEEvPT_jS4_, .Lfunc_end6-_ZN9rocsolver6v33100L6iota_nI19rocblas_complex_numIfEEEvPT_jS4_
                                        ; -- End function
	.set _ZN9rocsolver6v33100L6iota_nI19rocblas_complex_numIfEEEvPT_jS4_.num_vgpr, 3
	.set _ZN9rocsolver6v33100L6iota_nI19rocblas_complex_numIfEEEvPT_jS4_.num_agpr, 0
	.set _ZN9rocsolver6v33100L6iota_nI19rocblas_complex_numIfEEEvPT_jS4_.numbered_sgpr, 6
	.set _ZN9rocsolver6v33100L6iota_nI19rocblas_complex_numIfEEEvPT_jS4_.num_named_barrier, 0
	.set _ZN9rocsolver6v33100L6iota_nI19rocblas_complex_numIfEEEvPT_jS4_.private_seg_size, 0
	.set _ZN9rocsolver6v33100L6iota_nI19rocblas_complex_numIfEEEvPT_jS4_.uses_vcc, 1
	.set _ZN9rocsolver6v33100L6iota_nI19rocblas_complex_numIfEEEvPT_jS4_.uses_flat_scratch, 0
	.set _ZN9rocsolver6v33100L6iota_nI19rocblas_complex_numIfEEEvPT_jS4_.has_dyn_sized_stack, 0
	.set _ZN9rocsolver6v33100L6iota_nI19rocblas_complex_numIfEEEvPT_jS4_.has_recursion, 0
	.set _ZN9rocsolver6v33100L6iota_nI19rocblas_complex_numIfEEEvPT_jS4_.has_indirect_call, 0
	.section	.AMDGPU.csdata,"",@progbits
; Kernel info:
; codeLenInByte = 80
; TotalNumSgprs: 8
; NumVgprs: 3
; ScratchSize: 0
; MemoryBound: 0
; FloatMode: 240
; IeeeMode: 1
; LDSByteSize: 0 bytes/workgroup (compile time only)
; SGPRBlocks: 0
; VGPRBlocks: 0
; NumSGPRsForWavesPerEU: 8
; NumVGPRsForWavesPerEU: 3
; Occupancy: 16
; WaveLimiterHint : 0
; COMPUTE_PGM_RSRC2:SCRATCH_EN: 0
; COMPUTE_PGM_RSRC2:USER_SGPR: 6
; COMPUTE_PGM_RSRC2:TRAP_HANDLER: 0
; COMPUTE_PGM_RSRC2:TGID_X_EN: 1
; COMPUTE_PGM_RSRC2:TGID_Y_EN: 0
; COMPUTE_PGM_RSRC2:TGID_Z_EN: 0
; COMPUTE_PGM_RSRC2:TIDIG_COMP_CNT: 0
	.section	.text._ZN9rocsolver6v33100L16larf_left_kernelILi1024E19rocblas_complex_numIfEiPS3_EEvT1_S5_T2_lS5_lPKT0_lS6_lS5_l,"axG",@progbits,_ZN9rocsolver6v33100L16larf_left_kernelILi1024E19rocblas_complex_numIfEiPS3_EEvT1_S5_T2_lS5_lPKT0_lS6_lS5_l,comdat
	.globl	_ZN9rocsolver6v33100L16larf_left_kernelILi1024E19rocblas_complex_numIfEiPS3_EEvT1_S5_T2_lS5_lPKT0_lS6_lS5_l ; -- Begin function _ZN9rocsolver6v33100L16larf_left_kernelILi1024E19rocblas_complex_numIfEiPS3_EEvT1_S5_T2_lS5_lPKT0_lS6_lS5_l
	.p2align	8
	.type	_ZN9rocsolver6v33100L16larf_left_kernelILi1024E19rocblas_complex_numIfEiPS3_EEvT1_S5_T2_lS5_lPKT0_lS6_lS5_l,@function
_ZN9rocsolver6v33100L16larf_left_kernelILi1024E19rocblas_complex_numIfEiPS3_EEvT1_S5_T2_lS5_lPKT0_lS6_lS5_l: ; @_ZN9rocsolver6v33100L16larf_left_kernelILi1024E19rocblas_complex_numIfEiPS3_EEvT1_S5_T2_lS5_lPKT0_lS6_lS5_l
; %bb.0:
	s_clause 0x4
	s_load_dword s9, s[4:5], 0x0
	s_load_dwordx2 s[0:1], s[4:5], 0x50
	s_load_dword s2, s[4:5], 0x48
	s_load_dwordx2 s[10:11], s[4:5], 0x40
	s_load_dwordx8 s[12:19], s[4:5], 0x20
	v_mov_b32_e32 v5, 0
	v_lshlrev_b32_e32 v3, 3, v0
	v_mov_b32_e32 v6, 0
	s_ashr_i32 s25, s8, 31
	s_waitcnt lgkmcnt(0)
	v_cmp_gt_i32_e32 vcc_lo, s9, v0
	s_mul_i32 s22, s0, s25
	s_mul_hi_u32 s23, s0, s8
	s_mul_i32 s24, s1, s8
	s_mul_i32 s6, s0, s8
	s_mul_hi_i32 s21, s7, s2
	s_mul_i32 s20, s7, s2
	s_and_saveexec_b32 s26, vcc_lo
	s_cbranch_execz .LBB7_6
; %bb.1:
	s_clause 0x1
	s_load_dword s28, s[4:5], 0x18
	s_load_dwordx4 s[0:3], s[4:5], 0x8
	s_sub_i32 s5, 1, s9
	s_mul_i32 s7, s12, s25
	s_mul_hi_u32 s30, s12, s8
	s_mul_i32 s4, s12, s8
	s_mul_i32 s31, s13, s8
	v_add3_u32 v4, v3, 0, 0x100
	v_mov_b32_e32 v6, v0
	v_mov_b32_e32 v5, v4
	s_waitcnt lgkmcnt(0)
	s_ashr_i32 s29, s28, 31
	v_mad_i64_i32 v[1:2], null, s28, v0, 0
	v_cmp_lt_i64_e64 s27, s[28:29], 1
	s_mul_i32 s5, s28, s5
	s_and_b32 s12, s27, exec_lo
	s_cselect_b32 s12, s5, 0
	s_add_i32 s5, s30, s7
	s_ashr_i32 s13, s12, 31
	s_add_i32 s5, s5, s31
	s_lshl_b64 s[12:13], s[12:13], 3
	s_lshl_b64 s[2:3], s[2:3], 3
	;; [unrolled: 1-line block ×3, first 2 shown]
	v_lshlrev_b64 v[1:2], 3, v[1:2]
	s_add_u32 s0, s0, s12
	s_addc_u32 s1, s1, s13
	s_add_u32 s0, s0, s2
	s_addc_u32 s1, s1, s3
	;; [unrolled: 2-line block ×3, first 2 shown]
	v_add_co_u32 v1, s0, s0, v1
	v_add_co_ci_u32_e64 v2, null, s1, v2, s0
	s_mov_b32 s4, 0
	s_lshl_b64 s[2:3], s[28:29], 13
	.p2align	6
.LBB7_2:                                ; =>This Inner Loop Header: Depth=1
	global_load_dwordx2 v[7:8], v[1:2], off
	v_add_nc_u32_e32 v6, 0x400, v6
	v_add_co_u32 v1, s0, v1, s2
	v_add_co_ci_u32_e64 v2, null, s3, v2, s0
	v_cmp_le_i32_e64 s1, s9, v6
	s_or_b32 s4, s1, s4
	s_waitcnt vmcnt(0)
	ds_write_b64 v5, v[7:8]
	v_add_nc_u32_e32 v5, 0x2000, v5
	s_andn2_b32 exec_lo, exec_lo, s4
	s_cbranch_execnz .LBB7_2
; %bb.3:
	s_or_b32 exec_lo, exec_lo, s4
	s_add_i32 s0, s23, s22
	v_lshlrev_b32_e32 v1, 3, v0
	s_add_i32 s7, s0, s24
	s_lshl_b64 s[0:1], s[20:21], 3
	s_lshl_b64 s[2:3], s[6:7], 3
	v_mov_b32_e32 v5, 0
	s_add_u32 s2, s2, s0
	s_addc_u32 s3, s3, s1
	s_lshl_b64 s[0:1], s[10:11], 3
	v_mov_b32_e32 v7, v0
	s_add_u32 s0, s2, s0
	s_addc_u32 s1, s3, s1
	s_add_u32 s0, s18, s0
	s_addc_u32 s1, s19, s1
	v_add_co_u32 v1, s0, s0, v1
	v_add_co_ci_u32_e64 v2, null, s1, 0, s0
	v_mov_b32_e32 v6, 0
	v_add_co_u32 v1, s0, v1, 4
	v_add_co_ci_u32_e64 v2, null, 0, v2, s0
	s_mov_b32 s2, 0
	.p2align	6
.LBB7_4:                                ; =>This Inner Loop Header: Depth=1
	global_load_dwordx2 v[8:9], v[1:2], off offset:-4
	ds_read_b64 v[10:11], v4
	v_add_nc_u32_e32 v7, 0x400, v7
	v_add_co_u32 v1, s0, 0x2000, v1
	v_add_nc_u32_e32 v4, 0x2000, v4
	v_add_co_ci_u32_e64 v2, null, 0, v2, s0
	v_cmp_le_i32_e64 s1, s9, v7
	s_or_b32 s2, s1, s2
	s_waitcnt vmcnt(0) lgkmcnt(0)
	v_mul_f32_e32 v12, v9, v11
	v_mul_f32_e32 v9, v9, v10
	v_fmac_f32_e32 v12, v8, v10
	v_fma_f32 v8, v8, v11, -v9
	v_add_f32_e32 v6, v6, v12
	v_add_f32_e32 v5, v5, v8
	s_andn2_b32 exec_lo, exec_lo, s2
	s_cbranch_execnz .LBB7_4
; %bb.5:
	s_or_b32 exec_lo, exec_lo, s2
.LBB7_6:
	s_or_b32 exec_lo, exec_lo, s26
	v_mbcnt_lo_u32_b32 v1, -1, 0
	s_mov_b32 s1, exec_lo
	v_cmp_ne_u32_e64 s0, 31, v1
	v_add_co_ci_u32_e64 v2, null, 0, v1, s0
	v_cmp_gt_u32_e64 s0, 30, v1
	v_lshlrev_b32_e32 v2, 2, v2
	v_cndmask_b32_e64 v7, 0, 2, s0
	v_cmp_gt_u32_e64 s0, 28, v1
	ds_bpermute_b32 v4, v2, v6
	ds_bpermute_b32 v2, v2, v5
	v_add_lshl_u32 v7, v7, v1, 2
	s_waitcnt lgkmcnt(1)
	v_add_f32_e32 v4, v6, v4
	s_waitcnt lgkmcnt(0)
	v_add_f32_e32 v2, v5, v2
	ds_bpermute_b32 v5, v7, v4
	ds_bpermute_b32 v6, v7, v2
	v_cndmask_b32_e64 v7, 0, 4, s0
	v_cmp_gt_u32_e64 s0, 24, v1
	v_add_lshl_u32 v7, v7, v1, 2
	s_waitcnt lgkmcnt(1)
	v_add_f32_e32 v4, v4, v5
	s_waitcnt lgkmcnt(0)
	v_add_f32_e32 v2, v2, v6
	ds_bpermute_b32 v5, v7, v4
	ds_bpermute_b32 v6, v7, v2
	v_cndmask_b32_e64 v7, 0, 8, s0
	v_add_lshl_u32 v7, v7, v1, 2
	v_lshl_or_b32 v1, v1, 2, 64
	s_waitcnt lgkmcnt(1)
	v_add_f32_e32 v4, v4, v5
	s_waitcnt lgkmcnt(0)
	v_add_f32_e32 v2, v2, v6
	ds_bpermute_b32 v5, v7, v4
	ds_bpermute_b32 v6, v7, v2
	v_and_b32_e32 v7, 31, v0
	s_waitcnt lgkmcnt(1)
	v_add_f32_e32 v4, v4, v5
	s_waitcnt lgkmcnt(0)
	v_add_f32_e32 v2, v2, v6
	ds_bpermute_b32 v5, v1, v4
	ds_bpermute_b32 v6, v1, v2
	s_waitcnt lgkmcnt(1)
	v_add_f32_e32 v1, v4, v5
	s_waitcnt lgkmcnt(0)
	v_add_f32_e32 v2, v2, v6
	v_cmpx_eq_u32_e32 0, v7
; %bb.7:
	v_lshrrev_b32_e32 v4, 2, v0
	v_add_nc_u32_e32 v4, 0, v4
	ds_write2_b32 v4, v1, v2 offset1:1
; %bb.8:
	s_or_b32 exec_lo, exec_lo, s1
	s_mov_b32 s1, exec_lo
	s_waitcnt lgkmcnt(0)
	s_barrier
	buffer_gl0_inv
	v_cmpx_eq_u32_e32 0, v0
	s_cbranch_execz .LBB7_10
; %bb.9:
	v_mov_b32_e32 v16, 0
	ds_read2_b64 v[4:7], v16 offset0:1 offset1:2
	ds_read2_b64 v[8:11], v16 offset0:3 offset1:4
	;; [unrolled: 1-line block ×3, first 2 shown]
	s_waitcnt lgkmcnt(2)
	v_add_f32_e32 v1, v1, v4
	v_add_f32_e32 v2, v2, v5
	v_add_f32_e32 v1, v1, v6
	v_add_f32_e32 v2, v2, v7
	ds_read2_b64 v[4:7], v16 offset0:7 offset1:8
	s_waitcnt lgkmcnt(2)
	v_add_f32_e32 v1, v1, v8
	v_add_f32_e32 v2, v2, v9
	v_add_f32_e32 v1, v1, v10
	v_add_f32_e32 v2, v2, v11
	ds_read2_b64 v[8:11], v16 offset0:9 offset1:10
	;; [unrolled: 6-line block ×12, first 2 shown]
	s_waitcnt lgkmcnt(2)
	v_add_f32_e32 v1, v1, v4
	v_add_f32_e32 v2, v2, v5
	;; [unrolled: 1-line block ×4, first 2 shown]
	ds_read_b64 v[1:2], v16 offset:248
	s_waitcnt lgkmcnt(2)
	v_add_f32_e32 v4, v4, v8
	v_add_f32_e32 v5, v5, v9
	;; [unrolled: 1-line block ×4, first 2 shown]
	s_waitcnt lgkmcnt(1)
	v_add_f32_e32 v4, v4, v12
	v_add_f32_e32 v5, v5, v13
	v_add_f32_e32 v4, v4, v14
	v_add_f32_e32 v5, v5, v15
	s_waitcnt lgkmcnt(0)
	v_add_f32_e32 v1, v4, v1
	v_add_f32_e32 v2, v5, v2
	ds_write_b64 v16, v[1:2]
.LBB7_10:
	s_or_b32 exec_lo, exec_lo, s1
	s_waitcnt lgkmcnt(0)
	s_barrier
	buffer_gl0_inv
	s_and_saveexec_b32 s0, vcc_lo
	s_cbranch_execz .LBB7_13
; %bb.11:
	s_mul_i32 s0, s16, s25
	s_mul_hi_u32 s1, s16, s8
	s_mul_i32 s2, s17, s8
	s_add_i32 s0, s1, s0
	v_mov_b32_e32 v1, 0
	s_add_i32 s1, s0, s2
	s_mul_i32 s0, s16, s8
	v_add3_u32 v4, v3, 0, 0x100
	s_lshl_b64 s[0:1], s[0:1], 3
	ds_read_b64 v[1:2], v1
	s_add_u32 s0, s14, s0
	s_addc_u32 s1, s15, s1
	s_add_i32 s2, s23, s22
	s_load_dwordx2 s[0:1], s[0:1], 0x0
	s_add_i32 s7, s2, s24
	s_lshl_b64 s[2:3], s[20:21], 3
	s_lshl_b64 s[4:5], s[6:7], 3
	s_add_u32 s4, s4, s2
	s_addc_u32 s5, s5, s3
	s_lshl_b64 s[2:3], s[10:11], 3
	s_add_u32 s2, s4, s2
	s_addc_u32 s3, s5, s3
	s_add_u32 s2, s18, s2
	s_addc_u32 s3, s19, s3
	s_waitcnt lgkmcnt(0)
	v_mul_f32_e32 v5, s1, v2
	v_mul_f32_e32 v6, s1, v1
	v_add_co_u32 v7, s1, s2, v3
	v_add_co_ci_u32_e64 v8, null, s3, 0, s1
	v_fma_f32 v3, v1, -s0, -v5
	v_add_co_u32 v1, vcc_lo, v7, 4
	v_fma_f32 v5, s0, v2, -v6
	v_add_co_ci_u32_e64 v2, null, 0, v8, vcc_lo
	s_mov_b32 s1, 0
	.p2align	6
.LBB7_12:                               ; =>This Inner Loop Header: Depth=1
	global_load_dwordx2 v[6:7], v[1:2], off offset:-4
	ds_read_b64 v[8:9], v4
	v_add_nc_u32_e32 v0, 0x400, v0
	v_add_nc_u32_e32 v4, 0x2000, v4
	v_cmp_le_i32_e32 vcc_lo, s9, v0
	s_or_b32 s1, vcc_lo, s1
	s_waitcnt lgkmcnt(0)
	v_mul_f32_e32 v10, v5, v9
	v_mul_f32_e32 v9, v3, v9
	v_fma_f32 v10, v3, v8, -v10
	v_fmac_f32_e32 v9, v5, v8
	s_waitcnt vmcnt(0)
	v_add_f32_e32 v6, v6, v10
	v_add_f32_e32 v7, v9, v7
	global_store_dwordx2 v[1:2], v[6:7], off offset:-4
	v_add_co_u32 v1, s0, 0x2000, v1
	v_add_co_ci_u32_e64 v2, null, 0, v2, s0
	s_andn2_b32 exec_lo, exec_lo, s1
	s_cbranch_execnz .LBB7_12
.LBB7_13:
	s_endpgm
	.section	.rodata,"a",@progbits
	.p2align	6, 0x0
	.amdhsa_kernel _ZN9rocsolver6v33100L16larf_left_kernelILi1024E19rocblas_complex_numIfEiPS3_EEvT1_S5_T2_lS5_lPKT0_lS6_lS5_l
		.amdhsa_group_segment_fixed_size 0
		.amdhsa_private_segment_fixed_size 0
		.amdhsa_kernarg_size 88
		.amdhsa_user_sgpr_count 6
		.amdhsa_user_sgpr_private_segment_buffer 1
		.amdhsa_user_sgpr_dispatch_ptr 0
		.amdhsa_user_sgpr_queue_ptr 0
		.amdhsa_user_sgpr_kernarg_segment_ptr 1
		.amdhsa_user_sgpr_dispatch_id 0
		.amdhsa_user_sgpr_flat_scratch_init 0
		.amdhsa_user_sgpr_private_segment_size 0
		.amdhsa_wavefront_size32 1
		.amdhsa_uses_dynamic_stack 0
		.amdhsa_system_sgpr_private_segment_wavefront_offset 0
		.amdhsa_system_sgpr_workgroup_id_x 1
		.amdhsa_system_sgpr_workgroup_id_y 1
		.amdhsa_system_sgpr_workgroup_id_z 1
		.amdhsa_system_sgpr_workgroup_info 0
		.amdhsa_system_vgpr_workitem_id 0
		.amdhsa_next_free_vgpr 17
		.amdhsa_next_free_sgpr 32
		.amdhsa_reserve_vcc 1
		.amdhsa_reserve_flat_scratch 0
		.amdhsa_float_round_mode_32 0
		.amdhsa_float_round_mode_16_64 0
		.amdhsa_float_denorm_mode_32 3
		.amdhsa_float_denorm_mode_16_64 3
		.amdhsa_dx10_clamp 1
		.amdhsa_ieee_mode 1
		.amdhsa_fp16_overflow 0
		.amdhsa_workgroup_processor_mode 1
		.amdhsa_memory_ordered 1
		.amdhsa_forward_progress 1
		.amdhsa_shared_vgpr_count 0
		.amdhsa_exception_fp_ieee_invalid_op 0
		.amdhsa_exception_fp_denorm_src 0
		.amdhsa_exception_fp_ieee_div_zero 0
		.amdhsa_exception_fp_ieee_overflow 0
		.amdhsa_exception_fp_ieee_underflow 0
		.amdhsa_exception_fp_ieee_inexact 0
		.amdhsa_exception_int_div_zero 0
	.end_amdhsa_kernel
	.section	.text._ZN9rocsolver6v33100L16larf_left_kernelILi1024E19rocblas_complex_numIfEiPS3_EEvT1_S5_T2_lS5_lPKT0_lS6_lS5_l,"axG",@progbits,_ZN9rocsolver6v33100L16larf_left_kernelILi1024E19rocblas_complex_numIfEiPS3_EEvT1_S5_T2_lS5_lPKT0_lS6_lS5_l,comdat
.Lfunc_end7:
	.size	_ZN9rocsolver6v33100L16larf_left_kernelILi1024E19rocblas_complex_numIfEiPS3_EEvT1_S5_T2_lS5_lPKT0_lS6_lS5_l, .Lfunc_end7-_ZN9rocsolver6v33100L16larf_left_kernelILi1024E19rocblas_complex_numIfEiPS3_EEvT1_S5_T2_lS5_lPKT0_lS6_lS5_l
                                        ; -- End function
	.set _ZN9rocsolver6v33100L16larf_left_kernelILi1024E19rocblas_complex_numIfEiPS3_EEvT1_S5_T2_lS5_lPKT0_lS6_lS5_l.num_vgpr, 17
	.set _ZN9rocsolver6v33100L16larf_left_kernelILi1024E19rocblas_complex_numIfEiPS3_EEvT1_S5_T2_lS5_lPKT0_lS6_lS5_l.num_agpr, 0
	.set _ZN9rocsolver6v33100L16larf_left_kernelILi1024E19rocblas_complex_numIfEiPS3_EEvT1_S5_T2_lS5_lPKT0_lS6_lS5_l.numbered_sgpr, 32
	.set _ZN9rocsolver6v33100L16larf_left_kernelILi1024E19rocblas_complex_numIfEiPS3_EEvT1_S5_T2_lS5_lPKT0_lS6_lS5_l.num_named_barrier, 0
	.set _ZN9rocsolver6v33100L16larf_left_kernelILi1024E19rocblas_complex_numIfEiPS3_EEvT1_S5_T2_lS5_lPKT0_lS6_lS5_l.private_seg_size, 0
	.set _ZN9rocsolver6v33100L16larf_left_kernelILi1024E19rocblas_complex_numIfEiPS3_EEvT1_S5_T2_lS5_lPKT0_lS6_lS5_l.uses_vcc, 1
	.set _ZN9rocsolver6v33100L16larf_left_kernelILi1024E19rocblas_complex_numIfEiPS3_EEvT1_S5_T2_lS5_lPKT0_lS6_lS5_l.uses_flat_scratch, 0
	.set _ZN9rocsolver6v33100L16larf_left_kernelILi1024E19rocblas_complex_numIfEiPS3_EEvT1_S5_T2_lS5_lPKT0_lS6_lS5_l.has_dyn_sized_stack, 0
	.set _ZN9rocsolver6v33100L16larf_left_kernelILi1024E19rocblas_complex_numIfEiPS3_EEvT1_S5_T2_lS5_lPKT0_lS6_lS5_l.has_recursion, 0
	.set _ZN9rocsolver6v33100L16larf_left_kernelILi1024E19rocblas_complex_numIfEiPS3_EEvT1_S5_T2_lS5_lPKT0_lS6_lS5_l.has_indirect_call, 0
	.section	.AMDGPU.csdata,"",@progbits
; Kernel info:
; codeLenInByte = 1780
; TotalNumSgprs: 34
; NumVgprs: 17
; ScratchSize: 0
; MemoryBound: 0
; FloatMode: 240
; IeeeMode: 1
; LDSByteSize: 0 bytes/workgroup (compile time only)
; SGPRBlocks: 0
; VGPRBlocks: 2
; NumSGPRsForWavesPerEU: 34
; NumVGPRsForWavesPerEU: 17
; Occupancy: 16
; WaveLimiterHint : 0
; COMPUTE_PGM_RSRC2:SCRATCH_EN: 0
; COMPUTE_PGM_RSRC2:USER_SGPR: 6
; COMPUTE_PGM_RSRC2:TRAP_HANDLER: 0
; COMPUTE_PGM_RSRC2:TGID_X_EN: 1
; COMPUTE_PGM_RSRC2:TGID_Y_EN: 1
; COMPUTE_PGM_RSRC2:TGID_Z_EN: 1
; COMPUTE_PGM_RSRC2:TIDIG_COMP_CNT: 0
	.section	.text._ZN9rocsolver6v33100L17larf_right_kernelILi1024E19rocblas_complex_numIfEiPS3_EEvT1_S5_T2_lS5_lPKT0_lS6_lS5_l,"axG",@progbits,_ZN9rocsolver6v33100L17larf_right_kernelILi1024E19rocblas_complex_numIfEiPS3_EEvT1_S5_T2_lS5_lPKT0_lS6_lS5_l,comdat
	.globl	_ZN9rocsolver6v33100L17larf_right_kernelILi1024E19rocblas_complex_numIfEiPS3_EEvT1_S5_T2_lS5_lPKT0_lS6_lS5_l ; -- Begin function _ZN9rocsolver6v33100L17larf_right_kernelILi1024E19rocblas_complex_numIfEiPS3_EEvT1_S5_T2_lS5_lPKT0_lS6_lS5_l
	.p2align	8
	.type	_ZN9rocsolver6v33100L17larf_right_kernelILi1024E19rocblas_complex_numIfEiPS3_EEvT1_S5_T2_lS5_lPKT0_lS6_lS5_l,@function
_ZN9rocsolver6v33100L17larf_right_kernelILi1024E19rocblas_complex_numIfEiPS3_EEvT1_S5_T2_lS5_lPKT0_lS6_lS5_l: ; @_ZN9rocsolver6v33100L17larf_right_kernelILi1024E19rocblas_complex_numIfEiPS3_EEvT1_S5_T2_lS5_lPKT0_lS6_lS5_l
; %bb.0:
	s_clause 0x4
	s_load_dword s9, s[4:5], 0x4
	s_load_dwordx2 s[0:1], s[4:5], 0x50
	s_load_dwordx2 s[20:21], s[4:5], 0x40
	s_load_dword s6, s[4:5], 0x48
	s_load_dwordx8 s[12:19], s[4:5], 0x20
	v_mov_b32_e32 v5, 0
	v_lshlrev_b32_e32 v3, 3, v0
	v_mov_b32_e32 v6, 0
	s_ashr_i32 s27, s8, 31
	s_mov_b32 s10, s7
	s_ashr_i32 s11, s7, 31
	s_waitcnt lgkmcnt(0)
	v_cmp_gt_i32_e32 vcc_lo, s9, v0
	s_mul_i32 s24, s0, s27
	s_mul_hi_u32 s26, s0, s8
	s_mul_i32 s25, s1, s8
	s_mul_i32 s22, s0, s8
	s_and_saveexec_b32 s28, vcc_lo
	s_cbranch_execz .LBB8_6
; %bb.1:
	s_clause 0x1
	s_load_dword s30, s[4:5], 0x18
	s_load_dwordx4 s[0:3], s[4:5], 0x8
	s_sub_i32 s5, 1, s9
	s_mul_i32 s7, s12, s27
	s_mul_hi_u32 s29, s12, s8
	s_mul_i32 s4, s12, s8
	s_mul_i32 s33, s13, s8
	v_add3_u32 v4, v3, 0, 0x100
	v_mov_b32_e32 v6, v0
	v_mov_b32_e32 v5, v4
	s_waitcnt lgkmcnt(0)
	s_ashr_i32 s31, s30, 31
	v_mad_i64_i32 v[1:2], null, s30, v0, 0
	v_cmp_lt_i64_e64 s23, s[30:31], 1
	s_mul_i32 s5, s30, s5
	s_and_b32 s12, s23, exec_lo
	s_cselect_b32 s12, s5, 0
	s_add_i32 s5, s29, s7
	s_ashr_i32 s13, s12, 31
	s_add_i32 s5, s5, s33
	s_lshl_b64 s[12:13], s[12:13], 3
	s_lshl_b64 s[2:3], s[2:3], 3
	;; [unrolled: 1-line block ×3, first 2 shown]
	v_lshlrev_b64 v[1:2], 3, v[1:2]
	s_add_u32 s0, s0, s12
	s_addc_u32 s1, s1, s13
	s_add_u32 s0, s0, s2
	s_addc_u32 s1, s1, s3
	;; [unrolled: 2-line block ×3, first 2 shown]
	v_add_co_u32 v1, s0, s0, v1
	v_add_co_ci_u32_e64 v2, null, s1, v2, s0
	s_mov_b32 s4, 0
	s_lshl_b64 s[2:3], s[30:31], 13
	.p2align	6
.LBB8_2:                                ; =>This Inner Loop Header: Depth=1
	global_load_dwordx2 v[7:8], v[1:2], off
	v_add_nc_u32_e32 v6, 0x400, v6
	v_add_co_u32 v1, s0, v1, s2
	v_add_co_ci_u32_e64 v2, null, s3, v2, s0
	v_cmp_le_i32_e64 s1, s9, v6
	s_or_b32 s4, s1, s4
	s_waitcnt vmcnt(0)
	ds_write_b64 v5, v[7:8]
	v_add_nc_u32_e32 v5, 0x2000, v5
	s_andn2_b32 exec_lo, exec_lo, s4
	s_cbranch_execnz .LBB8_2
; %bb.3:
	s_or_b32 exec_lo, exec_lo, s4
	v_mad_i64_i32 v[1:2], null, s6, v0, 0
	s_add_i32 s2, s26, s24
	s_ashr_i32 s7, s6, 31
	s_add_i32 s23, s2, s25
	s_lshl_b64 s[2:3], s[10:11], 3
	s_lshl_b64 s[0:1], s[20:21], 3
	;; [unrolled: 1-line block ×3, first 2 shown]
	v_lshlrev_b64 v[1:2], 3, v[1:2]
	s_add_u32 s2, s18, s2
	s_addc_u32 s3, s19, s3
	s_add_u32 s0, s2, s0
	s_addc_u32 s1, s3, s1
	;; [unrolled: 2-line block ×3, first 2 shown]
	v_add_co_u32 v1, s0, s0, v1
	v_add_co_ci_u32_e64 v2, null, s1, v2, s0
	v_mov_b32_e32 v5, 0
	v_mov_b32_e32 v7, v0
	;; [unrolled: 1-line block ×3, first 2 shown]
	s_lshl_b64 s[2:3], s[6:7], 13
	s_mov_b32 s4, 0
	.p2align	6
.LBB8_4:                                ; =>This Inner Loop Header: Depth=1
	global_load_dwordx2 v[8:9], v[1:2], off
	ds_read_b64 v[10:11], v4
	v_add_nc_u32_e32 v7, 0x400, v7
	v_add_co_u32 v1, s0, v1, s2
	v_add_nc_u32_e32 v4, 0x2000, v4
	v_add_co_ci_u32_e64 v2, null, s3, v2, s0
	v_cmp_le_i32_e64 s1, s9, v7
	s_or_b32 s4, s1, s4
	s_waitcnt vmcnt(0) lgkmcnt(0)
	v_mul_f32_e32 v12, v11, v9
	v_mul_f32_e32 v9, v10, v9
	v_fma_f32 v10, v10, v8, -v12
	v_fmac_f32_e32 v9, v11, v8
	v_add_f32_e32 v6, v6, v10
	v_add_f32_e32 v5, v5, v9
	s_andn2_b32 exec_lo, exec_lo, s4
	s_cbranch_execnz .LBB8_4
; %bb.5:
	s_or_b32 exec_lo, exec_lo, s4
.LBB8_6:
	s_or_b32 exec_lo, exec_lo, s28
	v_mbcnt_lo_u32_b32 v1, -1, 0
	s_mov_b32 s1, exec_lo
	v_cmp_ne_u32_e64 s0, 31, v1
	v_add_co_ci_u32_e64 v2, null, 0, v1, s0
	v_cmp_gt_u32_e64 s0, 30, v1
	v_lshlrev_b32_e32 v2, 2, v2
	v_cndmask_b32_e64 v7, 0, 2, s0
	v_cmp_gt_u32_e64 s0, 28, v1
	ds_bpermute_b32 v4, v2, v6
	ds_bpermute_b32 v2, v2, v5
	v_add_lshl_u32 v7, v7, v1, 2
	s_waitcnt lgkmcnt(1)
	v_add_f32_e32 v4, v6, v4
	s_waitcnt lgkmcnt(0)
	v_add_f32_e32 v2, v5, v2
	ds_bpermute_b32 v5, v7, v4
	ds_bpermute_b32 v6, v7, v2
	v_cndmask_b32_e64 v7, 0, 4, s0
	v_cmp_gt_u32_e64 s0, 24, v1
	v_add_lshl_u32 v7, v7, v1, 2
	s_waitcnt lgkmcnt(1)
	v_add_f32_e32 v4, v4, v5
	s_waitcnt lgkmcnt(0)
	v_add_f32_e32 v2, v2, v6
	ds_bpermute_b32 v5, v7, v4
	ds_bpermute_b32 v6, v7, v2
	v_cndmask_b32_e64 v7, 0, 8, s0
	v_add_lshl_u32 v7, v7, v1, 2
	v_lshl_or_b32 v1, v1, 2, 64
	s_waitcnt lgkmcnt(1)
	v_add_f32_e32 v4, v4, v5
	s_waitcnt lgkmcnt(0)
	v_add_f32_e32 v2, v2, v6
	ds_bpermute_b32 v5, v7, v4
	ds_bpermute_b32 v6, v7, v2
	v_and_b32_e32 v7, 31, v0
	s_waitcnt lgkmcnt(1)
	v_add_f32_e32 v4, v4, v5
	s_waitcnt lgkmcnt(0)
	v_add_f32_e32 v2, v2, v6
	ds_bpermute_b32 v5, v1, v4
	ds_bpermute_b32 v6, v1, v2
	s_waitcnt lgkmcnt(1)
	v_add_f32_e32 v1, v4, v5
	s_waitcnt lgkmcnt(0)
	v_add_f32_e32 v2, v2, v6
	v_cmpx_eq_u32_e32 0, v7
; %bb.7:
	v_lshrrev_b32_e32 v4, 2, v0
	v_add_nc_u32_e32 v4, 0, v4
	ds_write2_b32 v4, v1, v2 offset1:1
; %bb.8:
	s_or_b32 exec_lo, exec_lo, s1
	s_mov_b32 s1, exec_lo
	s_waitcnt lgkmcnt(0)
	s_barrier
	buffer_gl0_inv
	v_cmpx_eq_u32_e32 0, v0
	s_cbranch_execz .LBB8_10
; %bb.9:
	v_mov_b32_e32 v16, 0
	ds_read2_b64 v[4:7], v16 offset0:1 offset1:2
	ds_read2_b64 v[8:11], v16 offset0:3 offset1:4
	;; [unrolled: 1-line block ×3, first 2 shown]
	s_waitcnt lgkmcnt(2)
	v_add_f32_e32 v1, v1, v4
	v_add_f32_e32 v2, v2, v5
	v_add_f32_e32 v1, v1, v6
	v_add_f32_e32 v2, v2, v7
	ds_read2_b64 v[4:7], v16 offset0:7 offset1:8
	s_waitcnt lgkmcnt(2)
	v_add_f32_e32 v1, v1, v8
	v_add_f32_e32 v2, v2, v9
	v_add_f32_e32 v1, v1, v10
	v_add_f32_e32 v2, v2, v11
	ds_read2_b64 v[8:11], v16 offset0:9 offset1:10
	;; [unrolled: 6-line block ×12, first 2 shown]
	s_waitcnt lgkmcnt(2)
	v_add_f32_e32 v1, v1, v4
	v_add_f32_e32 v2, v2, v5
	;; [unrolled: 1-line block ×4, first 2 shown]
	ds_read_b64 v[1:2], v16 offset:248
	s_waitcnt lgkmcnt(2)
	v_add_f32_e32 v4, v4, v8
	v_add_f32_e32 v5, v5, v9
	;; [unrolled: 1-line block ×4, first 2 shown]
	s_waitcnt lgkmcnt(1)
	v_add_f32_e32 v4, v4, v12
	v_add_f32_e32 v5, v5, v13
	;; [unrolled: 1-line block ×4, first 2 shown]
	s_waitcnt lgkmcnt(0)
	v_add_f32_e32 v1, v4, v1
	v_add_f32_e32 v2, v5, v2
	ds_write_b64 v16, v[1:2]
.LBB8_10:
	s_or_b32 exec_lo, exec_lo, s1
	s_waitcnt lgkmcnt(0)
	s_barrier
	buffer_gl0_inv
	s_and_saveexec_b32 s0, vcc_lo
	s_cbranch_execz .LBB8_13
; %bb.11:
	s_mul_i32 s0, s16, s27
	s_mul_hi_u32 s1, s16, s8
	s_mul_i32 s2, s17, s8
	s_add_i32 s0, s1, s0
	v_mov_b32_e32 v1, 0
	s_add_i32 s1, s0, s2
	s_mul_i32 s0, s16, s8
	v_mad_i64_i32 v[4:5], null, s6, v0, 0
	s_lshl_b64 s[0:1], s[0:1], 3
	ds_read_b64 v[1:2], v1
	s_add_u32 s0, s14, s0
	s_addc_u32 s1, s15, s1
	s_add_i32 s4, s26, s24
	s_load_dwordx2 s[0:1], s[0:1], 0x0
	s_add_i32 s23, s4, s25
	s_lshl_b64 s[4:5], s[10:11], 3
	s_ashr_i32 s7, s6, 31
	s_lshl_b64 s[2:3], s[20:21], 3
	s_lshl_b64 s[10:11], s[22:23], 3
	v_lshlrev_b64 v[4:5], 3, v[4:5]
	s_add_u32 s4, s18, s4
	s_addc_u32 s5, s19, s5
	s_add_u32 s2, s4, s2
	s_addc_u32 s3, s5, s3
	;; [unrolled: 2-line block ×3, first 2 shown]
	v_add_co_u32 v8, vcc_lo, s2, v4
	v_add_co_ci_u32_e64 v9, null, s3, v5, vcc_lo
	v_add3_u32 v3, v3, 0, 0x100
	s_lshl_b64 s[2:3], s[6:7], 13
	s_waitcnt lgkmcnt(0)
	v_mul_f32_e32 v7, s0, v2
	v_mul_f32_e32 v6, s0, v1
	v_fma_f32 v5, v1, -s1, -v7
	v_add_co_u32 v1, vcc_lo, v8, 4
	v_fma_f32 v4, s1, v2, -v6
	v_add_co_ci_u32_e64 v2, null, 0, v9, vcc_lo
	s_mov_b32 s1, 0
	.p2align	6
.LBB8_12:                               ; =>This Inner Loop Header: Depth=1
	global_load_dwordx2 v[6:7], v[1:2], off offset:-4
	ds_read_b64 v[8:9], v3
	v_add_nc_u32_e32 v0, 0x400, v0
	v_add_nc_u32_e32 v3, 0x2000, v3
	v_cmp_le_i32_e32 vcc_lo, s9, v0
	s_or_b32 s1, vcc_lo, s1
	s_waitcnt lgkmcnt(0)
	v_mul_f32_e32 v10, v5, v9
	v_mul_f32_e32 v9, v4, v9
	v_fmac_f32_e32 v10, v4, v8
	v_fma_f32 v8, v5, v8, -v9
	s_waitcnt vmcnt(0)
	v_add_f32_e32 v6, v6, v10
	v_add_f32_e32 v7, v8, v7
	global_store_dwordx2 v[1:2], v[6:7], off offset:-4
	v_add_co_u32 v1, s0, v1, s2
	v_add_co_ci_u32_e64 v2, null, s3, v2, s0
	s_andn2_b32 exec_lo, exec_lo, s1
	s_cbranch_execnz .LBB8_12
.LBB8_13:
	s_endpgm
	.section	.rodata,"a",@progbits
	.p2align	6, 0x0
	.amdhsa_kernel _ZN9rocsolver6v33100L17larf_right_kernelILi1024E19rocblas_complex_numIfEiPS3_EEvT1_S5_T2_lS5_lPKT0_lS6_lS5_l
		.amdhsa_group_segment_fixed_size 0
		.amdhsa_private_segment_fixed_size 0
		.amdhsa_kernarg_size 88
		.amdhsa_user_sgpr_count 6
		.amdhsa_user_sgpr_private_segment_buffer 1
		.amdhsa_user_sgpr_dispatch_ptr 0
		.amdhsa_user_sgpr_queue_ptr 0
		.amdhsa_user_sgpr_kernarg_segment_ptr 1
		.amdhsa_user_sgpr_dispatch_id 0
		.amdhsa_user_sgpr_flat_scratch_init 0
		.amdhsa_user_sgpr_private_segment_size 0
		.amdhsa_wavefront_size32 1
		.amdhsa_uses_dynamic_stack 0
		.amdhsa_system_sgpr_private_segment_wavefront_offset 0
		.amdhsa_system_sgpr_workgroup_id_x 1
		.amdhsa_system_sgpr_workgroup_id_y 1
		.amdhsa_system_sgpr_workgroup_id_z 1
		.amdhsa_system_sgpr_workgroup_info 0
		.amdhsa_system_vgpr_workitem_id 0
		.amdhsa_next_free_vgpr 17
		.amdhsa_next_free_sgpr 34
		.amdhsa_reserve_vcc 1
		.amdhsa_reserve_flat_scratch 0
		.amdhsa_float_round_mode_32 0
		.amdhsa_float_round_mode_16_64 0
		.amdhsa_float_denorm_mode_32 3
		.amdhsa_float_denorm_mode_16_64 3
		.amdhsa_dx10_clamp 1
		.amdhsa_ieee_mode 1
		.amdhsa_fp16_overflow 0
		.amdhsa_workgroup_processor_mode 1
		.amdhsa_memory_ordered 1
		.amdhsa_forward_progress 1
		.amdhsa_shared_vgpr_count 0
		.amdhsa_exception_fp_ieee_invalid_op 0
		.amdhsa_exception_fp_denorm_src 0
		.amdhsa_exception_fp_ieee_div_zero 0
		.amdhsa_exception_fp_ieee_overflow 0
		.amdhsa_exception_fp_ieee_underflow 0
		.amdhsa_exception_fp_ieee_inexact 0
		.amdhsa_exception_int_div_zero 0
	.end_amdhsa_kernel
	.section	.text._ZN9rocsolver6v33100L17larf_right_kernelILi1024E19rocblas_complex_numIfEiPS3_EEvT1_S5_T2_lS5_lPKT0_lS6_lS5_l,"axG",@progbits,_ZN9rocsolver6v33100L17larf_right_kernelILi1024E19rocblas_complex_numIfEiPS3_EEvT1_S5_T2_lS5_lPKT0_lS6_lS5_l,comdat
.Lfunc_end8:
	.size	_ZN9rocsolver6v33100L17larf_right_kernelILi1024E19rocblas_complex_numIfEiPS3_EEvT1_S5_T2_lS5_lPKT0_lS6_lS5_l, .Lfunc_end8-_ZN9rocsolver6v33100L17larf_right_kernelILi1024E19rocblas_complex_numIfEiPS3_EEvT1_S5_T2_lS5_lPKT0_lS6_lS5_l
                                        ; -- End function
	.set _ZN9rocsolver6v33100L17larf_right_kernelILi1024E19rocblas_complex_numIfEiPS3_EEvT1_S5_T2_lS5_lPKT0_lS6_lS5_l.num_vgpr, 17
	.set _ZN9rocsolver6v33100L17larf_right_kernelILi1024E19rocblas_complex_numIfEiPS3_EEvT1_S5_T2_lS5_lPKT0_lS6_lS5_l.num_agpr, 0
	.set _ZN9rocsolver6v33100L17larf_right_kernelILi1024E19rocblas_complex_numIfEiPS3_EEvT1_S5_T2_lS5_lPKT0_lS6_lS5_l.numbered_sgpr, 34
	.set _ZN9rocsolver6v33100L17larf_right_kernelILi1024E19rocblas_complex_numIfEiPS3_EEvT1_S5_T2_lS5_lPKT0_lS6_lS5_l.num_named_barrier, 0
	.set _ZN9rocsolver6v33100L17larf_right_kernelILi1024E19rocblas_complex_numIfEiPS3_EEvT1_S5_T2_lS5_lPKT0_lS6_lS5_l.private_seg_size, 0
	.set _ZN9rocsolver6v33100L17larf_right_kernelILi1024E19rocblas_complex_numIfEiPS3_EEvT1_S5_T2_lS5_lPKT0_lS6_lS5_l.uses_vcc, 1
	.set _ZN9rocsolver6v33100L17larf_right_kernelILi1024E19rocblas_complex_numIfEiPS3_EEvT1_S5_T2_lS5_lPKT0_lS6_lS5_l.uses_flat_scratch, 0
	.set _ZN9rocsolver6v33100L17larf_right_kernelILi1024E19rocblas_complex_numIfEiPS3_EEvT1_S5_T2_lS5_lPKT0_lS6_lS5_l.has_dyn_sized_stack, 0
	.set _ZN9rocsolver6v33100L17larf_right_kernelILi1024E19rocblas_complex_numIfEiPS3_EEvT1_S5_T2_lS5_lPKT0_lS6_lS5_l.has_recursion, 0
	.set _ZN9rocsolver6v33100L17larf_right_kernelILi1024E19rocblas_complex_numIfEiPS3_EEvT1_S5_T2_lS5_lPKT0_lS6_lS5_l.has_indirect_call, 0
	.section	.AMDGPU.csdata,"",@progbits
; Kernel info:
; codeLenInByte = 1776
; TotalNumSgprs: 36
; NumVgprs: 17
; ScratchSize: 0
; MemoryBound: 0
; FloatMode: 240
; IeeeMode: 1
; LDSByteSize: 0 bytes/workgroup (compile time only)
; SGPRBlocks: 0
; VGPRBlocks: 2
; NumSGPRsForWavesPerEU: 36
; NumVGPRsForWavesPerEU: 17
; Occupancy: 16
; WaveLimiterHint : 0
; COMPUTE_PGM_RSRC2:SCRATCH_EN: 0
; COMPUTE_PGM_RSRC2:USER_SGPR: 6
; COMPUTE_PGM_RSRC2:TRAP_HANDLER: 0
; COMPUTE_PGM_RSRC2:TGID_X_EN: 1
; COMPUTE_PGM_RSRC2:TGID_Y_EN: 1
; COMPUTE_PGM_RSRC2:TGID_Z_EN: 1
; COMPUTE_PGM_RSRC2:TIDIG_COMP_CNT: 0
	.section	.text._ZN9rocsolver6v33100L6iota_nI19rocblas_complex_numIdEEEvPT_jS4_,"axG",@progbits,_ZN9rocsolver6v33100L6iota_nI19rocblas_complex_numIdEEEvPT_jS4_,comdat
	.globl	_ZN9rocsolver6v33100L6iota_nI19rocblas_complex_numIdEEEvPT_jS4_ ; -- Begin function _ZN9rocsolver6v33100L6iota_nI19rocblas_complex_numIdEEEvPT_jS4_
	.p2align	8
	.type	_ZN9rocsolver6v33100L6iota_nI19rocblas_complex_numIdEEEvPT_jS4_,@function
_ZN9rocsolver6v33100L6iota_nI19rocblas_complex_numIdEEEvPT_jS4_: ; @_ZN9rocsolver6v33100L6iota_nI19rocblas_complex_numIdEEEvPT_jS4_
; %bb.0:
	s_load_dword s0, s[4:5], 0x8
	s_waitcnt lgkmcnt(0)
	v_cmp_gt_u32_e32 vcc_lo, s0, v0
	s_and_saveexec_b32 s0, vcc_lo
	s_cbranch_execz .LBB9_2
; %bb.1:
	v_cvt_f64_u32_e32 v[1:2], v0
	s_load_dwordx4 s[0:3], s[4:5], 0x10
	v_lshlrev_b32_e32 v0, 4, v0
	s_waitcnt lgkmcnt(0)
	v_add_f64 v[3:4], s[2:3], 0
	v_add_f64 v[1:2], s[0:1], v[1:2]
	s_load_dwordx2 s[0:1], s[4:5], 0x0
	s_waitcnt lgkmcnt(0)
	global_store_dwordx4 v0, v[1:4], s[0:1]
.LBB9_2:
	s_endpgm
	.section	.rodata,"a",@progbits
	.p2align	6, 0x0
	.amdhsa_kernel _ZN9rocsolver6v33100L6iota_nI19rocblas_complex_numIdEEEvPT_jS4_
		.amdhsa_group_segment_fixed_size 0
		.amdhsa_private_segment_fixed_size 0
		.amdhsa_kernarg_size 32
		.amdhsa_user_sgpr_count 6
		.amdhsa_user_sgpr_private_segment_buffer 1
		.amdhsa_user_sgpr_dispatch_ptr 0
		.amdhsa_user_sgpr_queue_ptr 0
		.amdhsa_user_sgpr_kernarg_segment_ptr 1
		.amdhsa_user_sgpr_dispatch_id 0
		.amdhsa_user_sgpr_flat_scratch_init 0
		.amdhsa_user_sgpr_private_segment_size 0
		.amdhsa_wavefront_size32 1
		.amdhsa_uses_dynamic_stack 0
		.amdhsa_system_sgpr_private_segment_wavefront_offset 0
		.amdhsa_system_sgpr_workgroup_id_x 1
		.amdhsa_system_sgpr_workgroup_id_y 0
		.amdhsa_system_sgpr_workgroup_id_z 0
		.amdhsa_system_sgpr_workgroup_info 0
		.amdhsa_system_vgpr_workitem_id 0
		.amdhsa_next_free_vgpr 5
		.amdhsa_next_free_sgpr 6
		.amdhsa_reserve_vcc 1
		.amdhsa_reserve_flat_scratch 0
		.amdhsa_float_round_mode_32 0
		.amdhsa_float_round_mode_16_64 0
		.amdhsa_float_denorm_mode_32 3
		.amdhsa_float_denorm_mode_16_64 3
		.amdhsa_dx10_clamp 1
		.amdhsa_ieee_mode 1
		.amdhsa_fp16_overflow 0
		.amdhsa_workgroup_processor_mode 1
		.amdhsa_memory_ordered 1
		.amdhsa_forward_progress 1
		.amdhsa_shared_vgpr_count 0
		.amdhsa_exception_fp_ieee_invalid_op 0
		.amdhsa_exception_fp_denorm_src 0
		.amdhsa_exception_fp_ieee_div_zero 0
		.amdhsa_exception_fp_ieee_overflow 0
		.amdhsa_exception_fp_ieee_underflow 0
		.amdhsa_exception_fp_ieee_inexact 0
		.amdhsa_exception_int_div_zero 0
	.end_amdhsa_kernel
	.section	.text._ZN9rocsolver6v33100L6iota_nI19rocblas_complex_numIdEEEvPT_jS4_,"axG",@progbits,_ZN9rocsolver6v33100L6iota_nI19rocblas_complex_numIdEEEvPT_jS4_,comdat
.Lfunc_end9:
	.size	_ZN9rocsolver6v33100L6iota_nI19rocblas_complex_numIdEEEvPT_jS4_, .Lfunc_end9-_ZN9rocsolver6v33100L6iota_nI19rocblas_complex_numIdEEEvPT_jS4_
                                        ; -- End function
	.set _ZN9rocsolver6v33100L6iota_nI19rocblas_complex_numIdEEEvPT_jS4_.num_vgpr, 5
	.set _ZN9rocsolver6v33100L6iota_nI19rocblas_complex_numIdEEEvPT_jS4_.num_agpr, 0
	.set _ZN9rocsolver6v33100L6iota_nI19rocblas_complex_numIdEEEvPT_jS4_.numbered_sgpr, 6
	.set _ZN9rocsolver6v33100L6iota_nI19rocblas_complex_numIdEEEvPT_jS4_.num_named_barrier, 0
	.set _ZN9rocsolver6v33100L6iota_nI19rocblas_complex_numIdEEEvPT_jS4_.private_seg_size, 0
	.set _ZN9rocsolver6v33100L6iota_nI19rocblas_complex_numIdEEEvPT_jS4_.uses_vcc, 1
	.set _ZN9rocsolver6v33100L6iota_nI19rocblas_complex_numIdEEEvPT_jS4_.uses_flat_scratch, 0
	.set _ZN9rocsolver6v33100L6iota_nI19rocblas_complex_numIdEEEvPT_jS4_.has_dyn_sized_stack, 0
	.set _ZN9rocsolver6v33100L6iota_nI19rocblas_complex_numIdEEEvPT_jS4_.has_recursion, 0
	.set _ZN9rocsolver6v33100L6iota_nI19rocblas_complex_numIdEEEvPT_jS4_.has_indirect_call, 0
	.section	.AMDGPU.csdata,"",@progbits
; Kernel info:
; codeLenInByte = 84
; TotalNumSgprs: 8
; NumVgprs: 5
; ScratchSize: 0
; MemoryBound: 0
; FloatMode: 240
; IeeeMode: 1
; LDSByteSize: 0 bytes/workgroup (compile time only)
; SGPRBlocks: 0
; VGPRBlocks: 0
; NumSGPRsForWavesPerEU: 8
; NumVGPRsForWavesPerEU: 5
; Occupancy: 16
; WaveLimiterHint : 0
; COMPUTE_PGM_RSRC2:SCRATCH_EN: 0
; COMPUTE_PGM_RSRC2:USER_SGPR: 6
; COMPUTE_PGM_RSRC2:TRAP_HANDLER: 0
; COMPUTE_PGM_RSRC2:TGID_X_EN: 1
; COMPUTE_PGM_RSRC2:TGID_Y_EN: 0
; COMPUTE_PGM_RSRC2:TGID_Z_EN: 0
; COMPUTE_PGM_RSRC2:TIDIG_COMP_CNT: 0
	.section	.text._ZN9rocsolver6v33100L16larf_left_kernelILi1024E19rocblas_complex_numIdEiPS3_EEvT1_S5_T2_lS5_lPKT0_lS6_lS5_l,"axG",@progbits,_ZN9rocsolver6v33100L16larf_left_kernelILi1024E19rocblas_complex_numIdEiPS3_EEvT1_S5_T2_lS5_lPKT0_lS6_lS5_l,comdat
	.globl	_ZN9rocsolver6v33100L16larf_left_kernelILi1024E19rocblas_complex_numIdEiPS3_EEvT1_S5_T2_lS5_lPKT0_lS6_lS5_l ; -- Begin function _ZN9rocsolver6v33100L16larf_left_kernelILi1024E19rocblas_complex_numIdEiPS3_EEvT1_S5_T2_lS5_lPKT0_lS6_lS5_l
	.p2align	8
	.type	_ZN9rocsolver6v33100L16larf_left_kernelILi1024E19rocblas_complex_numIdEiPS3_EEvT1_S5_T2_lS5_lPKT0_lS6_lS5_l,@function
_ZN9rocsolver6v33100L16larf_left_kernelILi1024E19rocblas_complex_numIdEiPS3_EEvT1_S5_T2_lS5_lPKT0_lS6_lS5_l: ; @_ZN9rocsolver6v33100L16larf_left_kernelILi1024E19rocblas_complex_numIdEiPS3_EEvT1_S5_T2_lS5_lPKT0_lS6_lS5_l
; %bb.0:
	s_clause 0x4
	s_load_dword s9, s[4:5], 0x0
	s_load_dwordx2 s[0:1], s[4:5], 0x50
	s_load_dword s2, s[4:5], 0x48
	s_load_dwordx2 s[10:11], s[4:5], 0x40
	s_load_dwordx8 s[12:19], s[4:5], 0x20
	v_mov_b32_e32 v1, 0
	v_mov_b32_e32 v3, 0
	;; [unrolled: 1-line block ×4, first 2 shown]
	v_lshlrev_b32_e32 v7, 4, v0
	s_ashr_i32 s25, s8, 31
	s_waitcnt lgkmcnt(0)
	v_cmp_gt_i32_e32 vcc_lo, s9, v0
	s_mul_i32 s22, s0, s25
	s_mul_hi_u32 s23, s0, s8
	s_mul_i32 s24, s1, s8
	s_mul_i32 s6, s0, s8
	s_mul_hi_i32 s21, s7, s2
	s_mul_i32 s20, s7, s2
	s_and_saveexec_b32 s26, vcc_lo
	s_cbranch_execz .LBB10_6
; %bb.1:
	s_clause 0x1
	s_load_dword s28, s[4:5], 0x18
	s_load_dwordx4 s[0:3], s[4:5], 0x8
	s_sub_i32 s5, 1, s9
	s_mul_i32 s7, s12, s25
	s_mul_hi_u32 s30, s12, s8
	s_mul_i32 s4, s12, s8
	s_mul_i32 s31, s13, s8
	v_add3_u32 v8, v7, 0, 0x200
	v_mov_b32_e32 v4, v0
	v_mov_b32_e32 v3, v8
	s_waitcnt lgkmcnt(0)
	s_ashr_i32 s29, s28, 31
	v_mad_i64_i32 v[1:2], null, s28, v0, 0
	v_cmp_lt_i64_e64 s27, s[28:29], 1
	s_mul_i32 s5, s28, s5
	s_and_b32 s12, s27, exec_lo
	s_cselect_b32 s12, s5, 0
	s_add_i32 s5, s30, s7
	s_ashr_i32 s13, s12, 31
	s_add_i32 s5, s5, s31
	s_lshl_b64 s[12:13], s[12:13], 4
	s_lshl_b64 s[2:3], s[2:3], 4
	;; [unrolled: 1-line block ×3, first 2 shown]
	v_lshlrev_b64 v[1:2], 4, v[1:2]
	s_add_u32 s0, s0, s12
	s_addc_u32 s1, s1, s13
	s_add_u32 s0, s0, s2
	s_addc_u32 s1, s1, s3
	;; [unrolled: 2-line block ×3, first 2 shown]
	v_add_co_u32 v1, s0, s0, v1
	v_add_co_ci_u32_e64 v2, null, s1, v2, s0
	s_mov_b32 s4, 0
	s_lshl_b64 s[2:3], s[28:29], 14
	.p2align	6
.LBB10_2:                               ; =>This Inner Loop Header: Depth=1
	global_load_dwordx4 v[9:12], v[1:2], off
	v_add_nc_u32_e32 v4, 0x400, v4
	v_add_co_u32 v1, s0, v1, s2
	v_add_co_ci_u32_e64 v2, null, s3, v2, s0
	v_cmp_le_i32_e64 s1, s9, v4
	s_or_b32 s4, s1, s4
	s_waitcnt vmcnt(0)
	ds_write2_b64 v3, v[9:10], v[11:12] offset1:1
	v_add_nc_u32_e32 v3, 0x4000, v3
	s_andn2_b32 exec_lo, exec_lo, s4
	s_cbranch_execnz .LBB10_2
; %bb.3:
	s_or_b32 exec_lo, exec_lo, s4
	s_add_i32 s0, s23, s22
	v_lshlrev_b32_e32 v1, 4, v0
	s_add_i32 s7, s0, s24
	s_lshl_b64 s[0:1], s[20:21], 4
	s_lshl_b64 s[2:3], s[6:7], 4
	v_mov_b32_e32 v3, 0
	s_add_u32 s2, s2, s0
	s_addc_u32 s3, s3, s1
	s_lshl_b64 s[0:1], s[10:11], 4
	v_mov_b32_e32 v4, 0
	s_add_u32 s0, s2, s0
	s_addc_u32 s1, s3, s1
	s_add_u32 s0, s18, s0
	s_addc_u32 s1, s19, s1
	v_add_co_u32 v1, s0, s0, v1
	v_add_co_ci_u32_e64 v2, null, s1, 0, s0
	v_mov_b32_e32 v9, v0
	v_add_co_u32 v5, s0, v1, 8
	v_add_co_ci_u32_e64 v6, null, 0, v2, s0
	v_mov_b32_e32 v1, 0
	v_mov_b32_e32 v2, 0
	s_mov_b32 s2, 0
	.p2align	6
.LBB10_4:                               ; =>This Inner Loop Header: Depth=1
	global_load_dwordx4 v[10:13], v[5:6], off offset:-8
	ds_read2_b64 v[14:17], v8 offset1:1
	v_add_nc_u32_e32 v9, 0x400, v9
	v_add_co_u32 v5, s1, 0x4000, v5
	v_add_nc_u32_e32 v8, 0x4000, v8
	v_add_co_ci_u32_e64 v6, null, 0, v6, s1
	v_cmp_le_i32_e64 s0, s9, v9
	s_or_b32 s2, s0, s2
	s_waitcnt vmcnt(0) lgkmcnt(0)
	v_mul_f64 v[18:19], v[12:13], v[16:17]
	v_mul_f64 v[12:13], v[12:13], v[14:15]
	v_fma_f64 v[14:15], v[10:11], v[14:15], v[18:19]
	v_fma_f64 v[10:11], v[10:11], v[16:17], -v[12:13]
	v_add_f64 v[3:4], v[3:4], v[14:15]
	v_add_f64 v[1:2], v[1:2], v[10:11]
	s_andn2_b32 exec_lo, exec_lo, s2
	s_cbranch_execnz .LBB10_4
; %bb.5:
	s_or_b32 exec_lo, exec_lo, s2
.LBB10_6:
	s_or_b32 exec_lo, exec_lo, s26
	v_mbcnt_lo_u32_b32 v10, -1, 0
	s_mov_b32 s1, exec_lo
	v_cmp_ne_u32_e64 s0, 31, v10
	v_add_co_ci_u32_e64 v5, null, 0, v10, s0
	v_cmp_gt_u32_e64 s0, 30, v10
	v_lshlrev_b32_e32 v9, 2, v5
	ds_bpermute_b32 v5, v9, v3
	ds_bpermute_b32 v6, v9, v4
	;; [unrolled: 1-line block ×4, first 2 shown]
	s_waitcnt lgkmcnt(2)
	v_add_f64 v[3:4], v[3:4], v[5:6]
	v_cndmask_b32_e64 v5, 0, 2, s0
	s_waitcnt lgkmcnt(0)
	v_add_f64 v[1:2], v[1:2], v[8:9]
	v_cmp_gt_u32_e64 s0, 28, v10
	v_add_lshl_u32 v9, v5, v10, 2
	ds_bpermute_b32 v5, v9, v3
	ds_bpermute_b32 v6, v9, v4
	;; [unrolled: 1-line block ×4, first 2 shown]
	s_waitcnt lgkmcnt(2)
	v_add_f64 v[3:4], v[3:4], v[5:6]
	v_cndmask_b32_e64 v5, 0, 4, s0
	s_waitcnt lgkmcnt(0)
	v_add_f64 v[1:2], v[1:2], v[8:9]
	v_cmp_gt_u32_e64 s0, 24, v10
	v_add_lshl_u32 v9, v5, v10, 2
	ds_bpermute_b32 v5, v9, v3
	ds_bpermute_b32 v6, v9, v4
	;; [unrolled: 1-line block ×4, first 2 shown]
	s_waitcnt lgkmcnt(2)
	v_add_f64 v[3:4], v[3:4], v[5:6]
	v_cndmask_b32_e64 v5, 0, 8, s0
	s_waitcnt lgkmcnt(0)
	v_add_f64 v[1:2], v[1:2], v[8:9]
	v_add_lshl_u32 v9, v5, v10, 2
	ds_bpermute_b32 v5, v9, v3
	ds_bpermute_b32 v6, v9, v4
	;; [unrolled: 1-line block ×4, first 2 shown]
	s_waitcnt lgkmcnt(2)
	v_add_f64 v[3:4], v[3:4], v[5:6]
	s_waitcnt lgkmcnt(0)
	v_add_f64 v[5:6], v[1:2], v[8:9]
	v_lshl_or_b32 v9, v10, 2, 64
	ds_bpermute_b32 v1, v9, v3
	ds_bpermute_b32 v2, v9, v4
	;; [unrolled: 1-line block ×4, first 2 shown]
	s_waitcnt lgkmcnt(2)
	v_add_f64 v[1:2], v[3:4], v[1:2]
	s_waitcnt lgkmcnt(0)
	v_add_f64 v[3:4], v[5:6], v[8:9]
	v_and_b32_e32 v5, 31, v0
	v_cmpx_eq_u32_e32 0, v5
; %bb.7:
	v_lshrrev_b32_e32 v5, 1, v0
	v_add_nc_u32_e32 v5, 0, v5
	ds_write2_b64 v5, v[1:2], v[3:4] offset1:1
; %bb.8:
	s_or_b32 exec_lo, exec_lo, s1
	s_mov_b32 s1, exec_lo
	s_waitcnt lgkmcnt(0)
	s_barrier
	buffer_gl0_inv
	v_cmpx_eq_u32_e32 0, v0
	s_cbranch_execz .LBB10_10
; %bb.9:
	v_mov_b32_e32 v16, 0
	ds_read2_b64 v[8:11], v16 offset0:2 offset1:3
	ds_read2_b64 v[12:15], v16 offset0:4 offset1:5
	s_waitcnt lgkmcnt(1)
	v_add_f64 v[1:2], v[1:2], v[8:9]
	v_add_f64 v[3:4], v[3:4], v[10:11]
	s_waitcnt lgkmcnt(0)
	v_add_f64 v[5:6], v[1:2], v[12:13]
	v_add_f64 v[12:13], v[3:4], v[14:15]
	ds_read2_b64 v[1:4], v16 offset0:6 offset1:7
	ds_read2_b64 v[8:11], v16 offset0:8 offset1:9
	s_waitcnt lgkmcnt(1)
	v_add_f64 v[1:2], v[5:6], v[1:2]
	v_add_f64 v[3:4], v[12:13], v[3:4]
	s_waitcnt lgkmcnt(0)
	v_add_f64 v[5:6], v[1:2], v[8:9]
	v_add_f64 v[12:13], v[3:4], v[10:11]
	;; [unrolled: 8-line block ×15, first 2 shown]
	ds_read2_b64 v[1:4], v16 offset0:62 offset1:63
	s_waitcnt lgkmcnt(0)
	v_add_f64 v[1:2], v[5:6], v[1:2]
	v_add_f64 v[3:4], v[8:9], v[3:4]
	ds_write2_b64 v16, v[1:2], v[3:4] offset1:1
.LBB10_10:
	s_or_b32 exec_lo, exec_lo, s1
	s_waitcnt lgkmcnt(0)
	s_barrier
	buffer_gl0_inv
	s_and_saveexec_b32 s0, vcc_lo
	s_cbranch_execz .LBB10_13
; %bb.11:
	s_mul_i32 s0, s16, s25
	s_mul_hi_u32 s1, s16, s8
	s_mul_i32 s2, s17, s8
	s_add_i32 s0, s1, s0
	v_mov_b32_e32 v1, 0
	s_add_i32 s1, s0, s2
	s_mul_i32 s0, s16, s8
	s_lshl_b64 s[0:1], s[0:1], 4
	ds_read2_b64 v[1:4], v1 offset1:1
	s_add_u32 s0, s14, s0
	s_addc_u32 s1, s15, s1
	s_load_dwordx4 s[0:3], s[0:1], 0x0
	s_waitcnt lgkmcnt(0)
	v_mul_f64 v[5:6], s[2:3], v[3:4]
	v_mul_f64 v[8:9], s[2:3], v[1:2]
	s_add_i32 s2, s23, s22
	s_add_i32 s7, s2, s24
	s_lshl_b64 s[2:3], s[20:21], 4
	s_lshl_b64 s[4:5], s[6:7], 4
	s_add_u32 s2, s4, s2
	s_addc_u32 s3, s5, s3
	v_fma_f64 v[1:2], v[1:2], -s[0:1], -v[5:6]
	v_fma_f64 v[3:4], s[0:1], v[3:4], -v[8:9]
	s_lshl_b64 s[0:1], s[10:11], 4
	s_add_u32 s0, s2, s0
	s_addc_u32 s1, s3, s1
	s_add_u32 s0, s18, s0
	s_addc_u32 s1, s19, s1
	v_add_co_u32 v5, s0, s0, v7
	v_add_co_ci_u32_e64 v6, null, s1, 0, s0
	v_add3_u32 v7, v7, 0, 0x200
	v_add_co_u32 v5, vcc_lo, v5, 8
	v_add_co_ci_u32_e64 v6, null, 0, v6, vcc_lo
	s_mov_b32 s1, 0
	.p2align	6
.LBB10_12:                              ; =>This Inner Loop Header: Depth=1
	global_load_dwordx4 v[8:11], v[5:6], off offset:-8
	ds_read2_b64 v[12:15], v7 offset1:1
	v_add_nc_u32_e32 v0, 0x400, v0
	v_add_nc_u32_e32 v7, 0x4000, v7
	v_cmp_le_i32_e32 vcc_lo, s9, v0
	s_or_b32 s1, vcc_lo, s1
	s_waitcnt lgkmcnt(0)
	v_mul_f64 v[16:17], v[3:4], v[14:15]
	v_mul_f64 v[14:15], v[1:2], v[14:15]
	v_fma_f64 v[16:17], v[1:2], v[12:13], -v[16:17]
	v_fma_f64 v[12:13], v[3:4], v[12:13], v[14:15]
	s_waitcnt vmcnt(0)
	v_add_f64 v[8:9], v[8:9], v[16:17]
	v_add_f64 v[10:11], v[12:13], v[10:11]
	global_store_dwordx4 v[5:6], v[8:11], off offset:-8
	v_add_co_u32 v5, s0, 0x4000, v5
	v_add_co_ci_u32_e64 v6, null, 0, v6, s0
	s_andn2_b32 exec_lo, exec_lo, s1
	s_cbranch_execnz .LBB10_12
.LBB10_13:
	s_endpgm
	.section	.rodata,"a",@progbits
	.p2align	6, 0x0
	.amdhsa_kernel _ZN9rocsolver6v33100L16larf_left_kernelILi1024E19rocblas_complex_numIdEiPS3_EEvT1_S5_T2_lS5_lPKT0_lS6_lS5_l
		.amdhsa_group_segment_fixed_size 0
		.amdhsa_private_segment_fixed_size 0
		.amdhsa_kernarg_size 88
		.amdhsa_user_sgpr_count 6
		.amdhsa_user_sgpr_private_segment_buffer 1
		.amdhsa_user_sgpr_dispatch_ptr 0
		.amdhsa_user_sgpr_queue_ptr 0
		.amdhsa_user_sgpr_kernarg_segment_ptr 1
		.amdhsa_user_sgpr_dispatch_id 0
		.amdhsa_user_sgpr_flat_scratch_init 0
		.amdhsa_user_sgpr_private_segment_size 0
		.amdhsa_wavefront_size32 1
		.amdhsa_uses_dynamic_stack 0
		.amdhsa_system_sgpr_private_segment_wavefront_offset 0
		.amdhsa_system_sgpr_workgroup_id_x 1
		.amdhsa_system_sgpr_workgroup_id_y 1
		.amdhsa_system_sgpr_workgroup_id_z 1
		.amdhsa_system_sgpr_workgroup_info 0
		.amdhsa_system_vgpr_workitem_id 0
		.amdhsa_next_free_vgpr 20
		.amdhsa_next_free_sgpr 32
		.amdhsa_reserve_vcc 1
		.amdhsa_reserve_flat_scratch 0
		.amdhsa_float_round_mode_32 0
		.amdhsa_float_round_mode_16_64 0
		.amdhsa_float_denorm_mode_32 3
		.amdhsa_float_denorm_mode_16_64 3
		.amdhsa_dx10_clamp 1
		.amdhsa_ieee_mode 1
		.amdhsa_fp16_overflow 0
		.amdhsa_workgroup_processor_mode 1
		.amdhsa_memory_ordered 1
		.amdhsa_forward_progress 1
		.amdhsa_shared_vgpr_count 0
		.amdhsa_exception_fp_ieee_invalid_op 0
		.amdhsa_exception_fp_denorm_src 0
		.amdhsa_exception_fp_ieee_div_zero 0
		.amdhsa_exception_fp_ieee_overflow 0
		.amdhsa_exception_fp_ieee_underflow 0
		.amdhsa_exception_fp_ieee_inexact 0
		.amdhsa_exception_int_div_zero 0
	.end_amdhsa_kernel
	.section	.text._ZN9rocsolver6v33100L16larf_left_kernelILi1024E19rocblas_complex_numIdEiPS3_EEvT1_S5_T2_lS5_lPKT0_lS6_lS5_l,"axG",@progbits,_ZN9rocsolver6v33100L16larf_left_kernelILi1024E19rocblas_complex_numIdEiPS3_EEvT1_S5_T2_lS5_lPKT0_lS6_lS5_l,comdat
.Lfunc_end10:
	.size	_ZN9rocsolver6v33100L16larf_left_kernelILi1024E19rocblas_complex_numIdEiPS3_EEvT1_S5_T2_lS5_lPKT0_lS6_lS5_l, .Lfunc_end10-_ZN9rocsolver6v33100L16larf_left_kernelILi1024E19rocblas_complex_numIdEiPS3_EEvT1_S5_T2_lS5_lPKT0_lS6_lS5_l
                                        ; -- End function
	.set _ZN9rocsolver6v33100L16larf_left_kernelILi1024E19rocblas_complex_numIdEiPS3_EEvT1_S5_T2_lS5_lPKT0_lS6_lS5_l.num_vgpr, 20
	.set _ZN9rocsolver6v33100L16larf_left_kernelILi1024E19rocblas_complex_numIdEiPS3_EEvT1_S5_T2_lS5_lPKT0_lS6_lS5_l.num_agpr, 0
	.set _ZN9rocsolver6v33100L16larf_left_kernelILi1024E19rocblas_complex_numIdEiPS3_EEvT1_S5_T2_lS5_lPKT0_lS6_lS5_l.numbered_sgpr, 32
	.set _ZN9rocsolver6v33100L16larf_left_kernelILi1024E19rocblas_complex_numIdEiPS3_EEvT1_S5_T2_lS5_lPKT0_lS6_lS5_l.num_named_barrier, 0
	.set _ZN9rocsolver6v33100L16larf_left_kernelILi1024E19rocblas_complex_numIdEiPS3_EEvT1_S5_T2_lS5_lPKT0_lS6_lS5_l.private_seg_size, 0
	.set _ZN9rocsolver6v33100L16larf_left_kernelILi1024E19rocblas_complex_numIdEiPS3_EEvT1_S5_T2_lS5_lPKT0_lS6_lS5_l.uses_vcc, 1
	.set _ZN9rocsolver6v33100L16larf_left_kernelILi1024E19rocblas_complex_numIdEiPS3_EEvT1_S5_T2_lS5_lPKT0_lS6_lS5_l.uses_flat_scratch, 0
	.set _ZN9rocsolver6v33100L16larf_left_kernelILi1024E19rocblas_complex_numIdEiPS3_EEvT1_S5_T2_lS5_lPKT0_lS6_lS5_l.has_dyn_sized_stack, 0
	.set _ZN9rocsolver6v33100L16larf_left_kernelILi1024E19rocblas_complex_numIdEiPS3_EEvT1_S5_T2_lS5_lPKT0_lS6_lS5_l.has_recursion, 0
	.set _ZN9rocsolver6v33100L16larf_left_kernelILi1024E19rocblas_complex_numIdEiPS3_EEvT1_S5_T2_lS5_lPKT0_lS6_lS5_l.has_indirect_call, 0
	.section	.AMDGPU.csdata,"",@progbits
; Kernel info:
; codeLenInByte = 2376
; TotalNumSgprs: 34
; NumVgprs: 20
; ScratchSize: 0
; MemoryBound: 0
; FloatMode: 240
; IeeeMode: 1
; LDSByteSize: 0 bytes/workgroup (compile time only)
; SGPRBlocks: 0
; VGPRBlocks: 2
; NumSGPRsForWavesPerEU: 34
; NumVGPRsForWavesPerEU: 20
; Occupancy: 16
; WaveLimiterHint : 0
; COMPUTE_PGM_RSRC2:SCRATCH_EN: 0
; COMPUTE_PGM_RSRC2:USER_SGPR: 6
; COMPUTE_PGM_RSRC2:TRAP_HANDLER: 0
; COMPUTE_PGM_RSRC2:TGID_X_EN: 1
; COMPUTE_PGM_RSRC2:TGID_Y_EN: 1
; COMPUTE_PGM_RSRC2:TGID_Z_EN: 1
; COMPUTE_PGM_RSRC2:TIDIG_COMP_CNT: 0
	.section	.text._ZN9rocsolver6v33100L17larf_right_kernelILi1024E19rocblas_complex_numIdEiPS3_EEvT1_S5_T2_lS5_lPKT0_lS6_lS5_l,"axG",@progbits,_ZN9rocsolver6v33100L17larf_right_kernelILi1024E19rocblas_complex_numIdEiPS3_EEvT1_S5_T2_lS5_lPKT0_lS6_lS5_l,comdat
	.globl	_ZN9rocsolver6v33100L17larf_right_kernelILi1024E19rocblas_complex_numIdEiPS3_EEvT1_S5_T2_lS5_lPKT0_lS6_lS5_l ; -- Begin function _ZN9rocsolver6v33100L17larf_right_kernelILi1024E19rocblas_complex_numIdEiPS3_EEvT1_S5_T2_lS5_lPKT0_lS6_lS5_l
	.p2align	8
	.type	_ZN9rocsolver6v33100L17larf_right_kernelILi1024E19rocblas_complex_numIdEiPS3_EEvT1_S5_T2_lS5_lPKT0_lS6_lS5_l,@function
_ZN9rocsolver6v33100L17larf_right_kernelILi1024E19rocblas_complex_numIdEiPS3_EEvT1_S5_T2_lS5_lPKT0_lS6_lS5_l: ; @_ZN9rocsolver6v33100L17larf_right_kernelILi1024E19rocblas_complex_numIdEiPS3_EEvT1_S5_T2_lS5_lPKT0_lS6_lS5_l
; %bb.0:
	s_clause 0x4
	s_load_dword s9, s[4:5], 0x4
	s_load_dwordx2 s[0:1], s[4:5], 0x50
	s_load_dwordx2 s[20:21], s[4:5], 0x40
	s_load_dword s6, s[4:5], 0x48
	s_load_dwordx8 s[12:19], s[4:5], 0x20
	v_mov_b32_e32 v1, 0
	v_mov_b32_e32 v3, 0
	;; [unrolled: 1-line block ×4, first 2 shown]
	v_lshlrev_b32_e32 v7, 4, v0
	s_ashr_i32 s27, s8, 31
	s_mov_b32 s10, s7
	s_ashr_i32 s11, s7, 31
	s_waitcnt lgkmcnt(0)
	v_cmp_gt_i32_e32 vcc_lo, s9, v0
	s_mul_i32 s24, s0, s27
	s_mul_hi_u32 s25, s0, s8
	s_mul_i32 s26, s1, s8
	s_mul_i32 s22, s0, s8
	s_and_saveexec_b32 s28, vcc_lo
	s_cbranch_execz .LBB11_6
; %bb.1:
	s_clause 0x1
	s_load_dword s30, s[4:5], 0x18
	s_load_dwordx4 s[0:3], s[4:5], 0x8
	s_sub_i32 s5, 1, s9
	s_mul_i32 s7, s12, s27
	s_mul_hi_u32 s29, s12, s8
	s_mul_i32 s4, s12, s8
	s_mul_i32 s33, s13, s8
	v_add3_u32 v8, v7, 0, 0x200
	v_mov_b32_e32 v4, v0
	v_mov_b32_e32 v3, v8
	s_waitcnt lgkmcnt(0)
	s_ashr_i32 s31, s30, 31
	v_mad_i64_i32 v[1:2], null, s30, v0, 0
	v_cmp_lt_i64_e64 s23, s[30:31], 1
	s_mul_i32 s5, s30, s5
	s_and_b32 s12, s23, exec_lo
	s_cselect_b32 s12, s5, 0
	s_add_i32 s5, s29, s7
	s_ashr_i32 s13, s12, 31
	s_add_i32 s5, s5, s33
	s_lshl_b64 s[12:13], s[12:13], 4
	s_lshl_b64 s[2:3], s[2:3], 4
	;; [unrolled: 1-line block ×3, first 2 shown]
	v_lshlrev_b64 v[1:2], 4, v[1:2]
	s_add_u32 s0, s0, s12
	s_addc_u32 s1, s1, s13
	s_add_u32 s0, s0, s2
	s_addc_u32 s1, s1, s3
	;; [unrolled: 2-line block ×3, first 2 shown]
	v_add_co_u32 v1, s0, s0, v1
	v_add_co_ci_u32_e64 v2, null, s1, v2, s0
	s_mov_b32 s4, 0
	s_lshl_b64 s[2:3], s[30:31], 14
	.p2align	6
.LBB11_2:                               ; =>This Inner Loop Header: Depth=1
	global_load_dwordx4 v[9:12], v[1:2], off
	v_add_nc_u32_e32 v4, 0x400, v4
	v_add_co_u32 v1, s0, v1, s2
	v_add_co_ci_u32_e64 v2, null, s3, v2, s0
	v_cmp_le_i32_e64 s1, s9, v4
	s_or_b32 s4, s1, s4
	s_waitcnt vmcnt(0)
	ds_write2_b64 v3, v[9:10], v[11:12] offset1:1
	v_add_nc_u32_e32 v3, 0x4000, v3
	s_andn2_b32 exec_lo, exec_lo, s4
	s_cbranch_execnz .LBB11_2
; %bb.3:
	s_or_b32 exec_lo, exec_lo, s4
	v_mad_i64_i32 v[1:2], null, s6, v0, 0
	s_add_i32 s2, s25, s24
	s_ashr_i32 s7, s6, 31
	s_add_i32 s23, s2, s26
	s_lshl_b64 s[2:3], s[10:11], 4
	s_lshl_b64 s[0:1], s[20:21], 4
	;; [unrolled: 1-line block ×3, first 2 shown]
	v_lshlrev_b64 v[1:2], 4, v[1:2]
	s_add_u32 s2, s18, s2
	s_addc_u32 s3, s19, s3
	s_add_u32 s0, s2, s0
	s_addc_u32 s1, s3, s1
	;; [unrolled: 2-line block ×3, first 2 shown]
	v_add_co_u32 v1, s0, s0, v1
	v_add_co_ci_u32_e64 v2, null, s1, v2, s0
	v_mov_b32_e32 v3, 0
	v_add_co_u32 v5, s0, v1, 8
	v_add_co_ci_u32_e64 v6, null, 0, v2, s0
	v_mov_b32_e32 v1, 0
	v_mov_b32_e32 v2, 0
	;; [unrolled: 1-line block ×4, first 2 shown]
	s_lshl_b64 s[2:3], s[6:7], 14
	s_mov_b32 s4, 0
	.p2align	6
.LBB11_4:                               ; =>This Inner Loop Header: Depth=1
	global_load_dwordx4 v[10:13], v[5:6], off offset:-8
	ds_read2_b64 v[14:17], v8 offset1:1
	v_add_nc_u32_e32 v9, 0x400, v9
	v_add_co_u32 v5, s1, v5, s2
	v_add_nc_u32_e32 v8, 0x4000, v8
	v_add_co_ci_u32_e64 v6, null, s3, v6, s1
	v_cmp_le_i32_e64 s0, s9, v9
	s_or_b32 s4, s0, s4
	s_waitcnt vmcnt(0) lgkmcnt(0)
	v_mul_f64 v[18:19], v[16:17], v[12:13]
	v_mul_f64 v[12:13], v[14:15], v[12:13]
	v_fma_f64 v[14:15], v[14:15], v[10:11], -v[18:19]
	v_fma_f64 v[10:11], v[16:17], v[10:11], v[12:13]
	v_add_f64 v[3:4], v[3:4], v[14:15]
	v_add_f64 v[1:2], v[1:2], v[10:11]
	s_andn2_b32 exec_lo, exec_lo, s4
	s_cbranch_execnz .LBB11_4
; %bb.5:
	s_or_b32 exec_lo, exec_lo, s4
.LBB11_6:
	s_or_b32 exec_lo, exec_lo, s28
	v_mbcnt_lo_u32_b32 v10, -1, 0
	s_mov_b32 s1, exec_lo
	v_cmp_ne_u32_e64 s0, 31, v10
	v_add_co_ci_u32_e64 v5, null, 0, v10, s0
	v_cmp_gt_u32_e64 s0, 30, v10
	v_lshlrev_b32_e32 v9, 2, v5
	ds_bpermute_b32 v5, v9, v3
	ds_bpermute_b32 v6, v9, v4
	;; [unrolled: 1-line block ×4, first 2 shown]
	s_waitcnt lgkmcnt(2)
	v_add_f64 v[3:4], v[3:4], v[5:6]
	v_cndmask_b32_e64 v5, 0, 2, s0
	s_waitcnt lgkmcnt(0)
	v_add_f64 v[1:2], v[1:2], v[8:9]
	v_cmp_gt_u32_e64 s0, 28, v10
	v_add_lshl_u32 v9, v5, v10, 2
	ds_bpermute_b32 v5, v9, v3
	ds_bpermute_b32 v6, v9, v4
	;; [unrolled: 1-line block ×4, first 2 shown]
	s_waitcnt lgkmcnt(2)
	v_add_f64 v[3:4], v[3:4], v[5:6]
	v_cndmask_b32_e64 v5, 0, 4, s0
	s_waitcnt lgkmcnt(0)
	v_add_f64 v[1:2], v[1:2], v[8:9]
	v_cmp_gt_u32_e64 s0, 24, v10
	v_add_lshl_u32 v9, v5, v10, 2
	ds_bpermute_b32 v5, v9, v3
	ds_bpermute_b32 v6, v9, v4
	;; [unrolled: 1-line block ×4, first 2 shown]
	s_waitcnt lgkmcnt(2)
	v_add_f64 v[3:4], v[3:4], v[5:6]
	v_cndmask_b32_e64 v5, 0, 8, s0
	s_waitcnt lgkmcnt(0)
	v_add_f64 v[1:2], v[1:2], v[8:9]
	v_add_lshl_u32 v9, v5, v10, 2
	ds_bpermute_b32 v5, v9, v3
	ds_bpermute_b32 v6, v9, v4
	;; [unrolled: 1-line block ×4, first 2 shown]
	s_waitcnt lgkmcnt(2)
	v_add_f64 v[3:4], v[3:4], v[5:6]
	s_waitcnt lgkmcnt(0)
	v_add_f64 v[5:6], v[1:2], v[8:9]
	v_lshl_or_b32 v9, v10, 2, 64
	ds_bpermute_b32 v1, v9, v3
	ds_bpermute_b32 v2, v9, v4
	;; [unrolled: 1-line block ×4, first 2 shown]
	s_waitcnt lgkmcnt(2)
	v_add_f64 v[1:2], v[3:4], v[1:2]
	s_waitcnt lgkmcnt(0)
	v_add_f64 v[3:4], v[5:6], v[8:9]
	v_and_b32_e32 v5, 31, v0
	v_cmpx_eq_u32_e32 0, v5
; %bb.7:
	v_lshrrev_b32_e32 v5, 1, v0
	v_add_nc_u32_e32 v5, 0, v5
	ds_write2_b64 v5, v[1:2], v[3:4] offset1:1
; %bb.8:
	s_or_b32 exec_lo, exec_lo, s1
	s_mov_b32 s1, exec_lo
	s_waitcnt lgkmcnt(0)
	s_barrier
	buffer_gl0_inv
	v_cmpx_eq_u32_e32 0, v0
	s_cbranch_execz .LBB11_10
; %bb.9:
	v_mov_b32_e32 v16, 0
	ds_read2_b64 v[8:11], v16 offset0:2 offset1:3
	ds_read2_b64 v[12:15], v16 offset0:4 offset1:5
	s_waitcnt lgkmcnt(1)
	v_add_f64 v[1:2], v[1:2], v[8:9]
	v_add_f64 v[3:4], v[3:4], v[10:11]
	s_waitcnt lgkmcnt(0)
	v_add_f64 v[5:6], v[1:2], v[12:13]
	v_add_f64 v[12:13], v[3:4], v[14:15]
	ds_read2_b64 v[1:4], v16 offset0:6 offset1:7
	ds_read2_b64 v[8:11], v16 offset0:8 offset1:9
	s_waitcnt lgkmcnt(1)
	v_add_f64 v[1:2], v[5:6], v[1:2]
	v_add_f64 v[3:4], v[12:13], v[3:4]
	s_waitcnt lgkmcnt(0)
	v_add_f64 v[5:6], v[1:2], v[8:9]
	v_add_f64 v[12:13], v[3:4], v[10:11]
	;; [unrolled: 8-line block ×15, first 2 shown]
	ds_read2_b64 v[1:4], v16 offset0:62 offset1:63
	s_waitcnt lgkmcnt(0)
	v_add_f64 v[1:2], v[5:6], v[1:2]
	v_add_f64 v[3:4], v[8:9], v[3:4]
	ds_write2_b64 v16, v[1:2], v[3:4] offset1:1
.LBB11_10:
	s_or_b32 exec_lo, exec_lo, s1
	s_waitcnt lgkmcnt(0)
	s_barrier
	buffer_gl0_inv
	s_and_saveexec_b32 s0, vcc_lo
	s_cbranch_execz .LBB11_13
; %bb.11:
	s_mul_i32 s0, s16, s27
	s_mul_hi_u32 s1, s16, s8
	s_mul_i32 s2, s17, s8
	s_add_i32 s0, s1, s0
	v_mov_b32_e32 v1, 0
	s_add_i32 s1, s0, s2
	s_mul_i32 s0, s16, s8
	v_mad_i64_i32 v[10:11], null, s6, v0, 0
	s_lshl_b64 s[0:1], s[0:1], 4
	ds_read2_b64 v[3:6], v1 offset1:1
	s_add_u32 s0, s14, s0
	s_addc_u32 s1, s15, s1
	s_ashr_i32 s7, s6, 31
	s_load_dwordx4 s[0:3], s[0:1], 0x0
	s_lshl_b64 s[4:5], s[20:21], 4
	v_add3_u32 v7, v7, 0, 0x200
	s_waitcnt lgkmcnt(0)
	v_mul_f64 v[1:2], s[0:1], v[3:4]
	v_mul_f64 v[8:9], s[0:1], v[5:6]
	s_add_i32 s0, s25, s24
	s_add_i32 s23, s0, s26
	s_lshl_b64 s[0:1], s[22:23], 4
	v_fma_f64 v[1:2], s[2:3], v[5:6], -v[1:2]
	v_fma_f64 v[3:4], v[3:4], -s[2:3], -v[8:9]
	s_lshl_b64 s[2:3], s[10:11], 4
	v_lshlrev_b64 v[5:6], 4, v[10:11]
	s_add_u32 s2, s18, s2
	s_addc_u32 s3, s19, s3
	s_add_u32 s2, s2, s4
	s_addc_u32 s3, s3, s5
	;; [unrolled: 2-line block ×3, first 2 shown]
	v_add_co_u32 v5, vcc_lo, s0, v5
	v_add_co_ci_u32_e64 v6, null, s1, v6, vcc_lo
	s_mov_b32 s1, 0
	v_add_co_u32 v5, vcc_lo, v5, 8
	v_add_co_ci_u32_e64 v6, null, 0, v6, vcc_lo
	s_lshl_b64 s[2:3], s[6:7], 14
	.p2align	6
.LBB11_12:                              ; =>This Inner Loop Header: Depth=1
	global_load_dwordx4 v[8:11], v[5:6], off offset:-8
	ds_read2_b64 v[12:15], v7 offset1:1
	v_add_nc_u32_e32 v0, 0x400, v0
	v_add_nc_u32_e32 v7, 0x4000, v7
	v_cmp_le_i32_e32 vcc_lo, s9, v0
	s_or_b32 s1, vcc_lo, s1
	s_waitcnt lgkmcnt(0)
	v_mul_f64 v[16:17], v[3:4], v[14:15]
	v_mul_f64 v[14:15], v[1:2], v[14:15]
	v_fma_f64 v[16:17], v[1:2], v[12:13], v[16:17]
	v_fma_f64 v[12:13], v[3:4], v[12:13], -v[14:15]
	s_waitcnt vmcnt(0)
	v_add_f64 v[8:9], v[8:9], v[16:17]
	v_add_f64 v[10:11], v[12:13], v[10:11]
	global_store_dwordx4 v[5:6], v[8:11], off offset:-8
	v_add_co_u32 v5, s0, v5, s2
	v_add_co_ci_u32_e64 v6, null, s3, v6, s0
	s_andn2_b32 exec_lo, exec_lo, s1
	s_cbranch_execnz .LBB11_12
.LBB11_13:
	s_endpgm
	.section	.rodata,"a",@progbits
	.p2align	6, 0x0
	.amdhsa_kernel _ZN9rocsolver6v33100L17larf_right_kernelILi1024E19rocblas_complex_numIdEiPS3_EEvT1_S5_T2_lS5_lPKT0_lS6_lS5_l
		.amdhsa_group_segment_fixed_size 0
		.amdhsa_private_segment_fixed_size 0
		.amdhsa_kernarg_size 88
		.amdhsa_user_sgpr_count 6
		.amdhsa_user_sgpr_private_segment_buffer 1
		.amdhsa_user_sgpr_dispatch_ptr 0
		.amdhsa_user_sgpr_queue_ptr 0
		.amdhsa_user_sgpr_kernarg_segment_ptr 1
		.amdhsa_user_sgpr_dispatch_id 0
		.amdhsa_user_sgpr_flat_scratch_init 0
		.amdhsa_user_sgpr_private_segment_size 0
		.amdhsa_wavefront_size32 1
		.amdhsa_uses_dynamic_stack 0
		.amdhsa_system_sgpr_private_segment_wavefront_offset 0
		.amdhsa_system_sgpr_workgroup_id_x 1
		.amdhsa_system_sgpr_workgroup_id_y 1
		.amdhsa_system_sgpr_workgroup_id_z 1
		.amdhsa_system_sgpr_workgroup_info 0
		.amdhsa_system_vgpr_workitem_id 0
		.amdhsa_next_free_vgpr 20
		.amdhsa_next_free_sgpr 34
		.amdhsa_reserve_vcc 1
		.amdhsa_reserve_flat_scratch 0
		.amdhsa_float_round_mode_32 0
		.amdhsa_float_round_mode_16_64 0
		.amdhsa_float_denorm_mode_32 3
		.amdhsa_float_denorm_mode_16_64 3
		.amdhsa_dx10_clamp 1
		.amdhsa_ieee_mode 1
		.amdhsa_fp16_overflow 0
		.amdhsa_workgroup_processor_mode 1
		.amdhsa_memory_ordered 1
		.amdhsa_forward_progress 1
		.amdhsa_shared_vgpr_count 0
		.amdhsa_exception_fp_ieee_invalid_op 0
		.amdhsa_exception_fp_denorm_src 0
		.amdhsa_exception_fp_ieee_div_zero 0
		.amdhsa_exception_fp_ieee_overflow 0
		.amdhsa_exception_fp_ieee_underflow 0
		.amdhsa_exception_fp_ieee_inexact 0
		.amdhsa_exception_int_div_zero 0
	.end_amdhsa_kernel
	.section	.text._ZN9rocsolver6v33100L17larf_right_kernelILi1024E19rocblas_complex_numIdEiPS3_EEvT1_S5_T2_lS5_lPKT0_lS6_lS5_l,"axG",@progbits,_ZN9rocsolver6v33100L17larf_right_kernelILi1024E19rocblas_complex_numIdEiPS3_EEvT1_S5_T2_lS5_lPKT0_lS6_lS5_l,comdat
.Lfunc_end11:
	.size	_ZN9rocsolver6v33100L17larf_right_kernelILi1024E19rocblas_complex_numIdEiPS3_EEvT1_S5_T2_lS5_lPKT0_lS6_lS5_l, .Lfunc_end11-_ZN9rocsolver6v33100L17larf_right_kernelILi1024E19rocblas_complex_numIdEiPS3_EEvT1_S5_T2_lS5_lPKT0_lS6_lS5_l
                                        ; -- End function
	.set _ZN9rocsolver6v33100L17larf_right_kernelILi1024E19rocblas_complex_numIdEiPS3_EEvT1_S5_T2_lS5_lPKT0_lS6_lS5_l.num_vgpr, 20
	.set _ZN9rocsolver6v33100L17larf_right_kernelILi1024E19rocblas_complex_numIdEiPS3_EEvT1_S5_T2_lS5_lPKT0_lS6_lS5_l.num_agpr, 0
	.set _ZN9rocsolver6v33100L17larf_right_kernelILi1024E19rocblas_complex_numIdEiPS3_EEvT1_S5_T2_lS5_lPKT0_lS6_lS5_l.numbered_sgpr, 34
	.set _ZN9rocsolver6v33100L17larf_right_kernelILi1024E19rocblas_complex_numIdEiPS3_EEvT1_S5_T2_lS5_lPKT0_lS6_lS5_l.num_named_barrier, 0
	.set _ZN9rocsolver6v33100L17larf_right_kernelILi1024E19rocblas_complex_numIdEiPS3_EEvT1_S5_T2_lS5_lPKT0_lS6_lS5_l.private_seg_size, 0
	.set _ZN9rocsolver6v33100L17larf_right_kernelILi1024E19rocblas_complex_numIdEiPS3_EEvT1_S5_T2_lS5_lPKT0_lS6_lS5_l.uses_vcc, 1
	.set _ZN9rocsolver6v33100L17larf_right_kernelILi1024E19rocblas_complex_numIdEiPS3_EEvT1_S5_T2_lS5_lPKT0_lS6_lS5_l.uses_flat_scratch, 0
	.set _ZN9rocsolver6v33100L17larf_right_kernelILi1024E19rocblas_complex_numIdEiPS3_EEvT1_S5_T2_lS5_lPKT0_lS6_lS5_l.has_dyn_sized_stack, 0
	.set _ZN9rocsolver6v33100L17larf_right_kernelILi1024E19rocblas_complex_numIdEiPS3_EEvT1_S5_T2_lS5_lPKT0_lS6_lS5_l.has_recursion, 0
	.set _ZN9rocsolver6v33100L17larf_right_kernelILi1024E19rocblas_complex_numIdEiPS3_EEvT1_S5_T2_lS5_lPKT0_lS6_lS5_l.has_indirect_call, 0
	.section	.AMDGPU.csdata,"",@progbits
; Kernel info:
; codeLenInByte = 2436
; TotalNumSgprs: 36
; NumVgprs: 20
; ScratchSize: 0
; MemoryBound: 0
; FloatMode: 240
; IeeeMode: 1
; LDSByteSize: 0 bytes/workgroup (compile time only)
; SGPRBlocks: 0
; VGPRBlocks: 2
; NumSGPRsForWavesPerEU: 36
; NumVGPRsForWavesPerEU: 20
; Occupancy: 16
; WaveLimiterHint : 0
; COMPUTE_PGM_RSRC2:SCRATCH_EN: 0
; COMPUTE_PGM_RSRC2:USER_SGPR: 6
; COMPUTE_PGM_RSRC2:TRAP_HANDLER: 0
; COMPUTE_PGM_RSRC2:TGID_X_EN: 1
; COMPUTE_PGM_RSRC2:TGID_Y_EN: 1
; COMPUTE_PGM_RSRC2:TGID_Z_EN: 1
; COMPUTE_PGM_RSRC2:TIDIG_COMP_CNT: 0
	.section	.text._ZN9rocsolver6v33100L16larf_left_kernelILi1024EflPfEEvT1_S3_T2_lS3_lPKT0_lS4_lS3_l,"axG",@progbits,_ZN9rocsolver6v33100L16larf_left_kernelILi1024EflPfEEvT1_S3_T2_lS3_lPKT0_lS4_lS3_l,comdat
	.globl	_ZN9rocsolver6v33100L16larf_left_kernelILi1024EflPfEEvT1_S3_T2_lS3_lPKT0_lS4_lS3_l ; -- Begin function _ZN9rocsolver6v33100L16larf_left_kernelILi1024EflPfEEvT1_S3_T2_lS3_lPKT0_lS4_lS3_l
	.p2align	8
	.type	_ZN9rocsolver6v33100L16larf_left_kernelILi1024EflPfEEvT1_S3_T2_lS3_lPKT0_lS4_lS3_l,@function
_ZN9rocsolver6v33100L16larf_left_kernelILi1024EflPfEEvT1_S3_T2_lS3_lPKT0_lS4_lS3_l: ; @_ZN9rocsolver6v33100L16larf_left_kernelILi1024EflPfEEvT1_S3_T2_lS3_lPKT0_lS4_lS3_l
; %bb.0:
	s_clause 0x1
	s_load_dwordx16 s[12:27], s[4:5], 0x10
	s_load_dwordx2 s[2:3], s[4:5], 0x0
	s_waitcnt lgkmcnt(0)
	v_cmp_gt_i64_e64 s0, s[16:17], 0
	s_and_b32 vcc_lo, exec_lo, s0
	s_mov_b64 s[0:1], 0
	s_cbranch_vccnz .LBB12_2
; %bb.1:
	s_sub_u32 s0, 1, s2
	s_subb_u32 s1, 0, s3
	s_mul_hi_u32 s6, s16, s0
	s_mul_i32 s1, s16, s1
	s_mul_i32 s9, s17, s0
	s_add_i32 s1, s6, s1
	s_mul_i32 s0, s16, s0
	s_add_i32 s1, s1, s9
.LBB12_2:
	s_load_dwordx4 s[36:39], s[4:5], 0x50
	v_mov_b32_e32 v1, 0
	v_lshlrev_b32_e32 v6, 2, v0
	s_mov_b32 s5, 0
	v_cmp_gt_i64_e32 vcc_lo, s[2:3], v[0:1]
	v_mov_b32_e32 v8, v1
	s_waitcnt lgkmcnt(0)
	s_mul_i32 s28, s39, s8
	s_mul_hi_u32 s30, s38, s8
	s_mul_i32 s4, s38, s8
	s_mul_i32 s9, s37, s7
	s_mul_hi_u32 s29, s36, s7
	s_mul_i32 s6, s36, s7
	s_and_saveexec_b32 s31, vcc_lo
	s_cbranch_execz .LBB12_8
; %bb.3:
	v_mad_u64_u32 v[2:3], null, s16, v0, 0
	s_mul_i32 s7, s19, s8
	s_mul_hi_u32 s11, s18, s8
	s_mul_i32 s10, s18, s8
	s_add_i32 s11, s11, s7
	s_lshl_b64 s[14:15], s[14:15], 2
	s_lshl_b64 s[0:1], s[0:1], 2
	v_mad_u64_u32 v[3:4], null, s17, v0, v[3:4]
	s_lshl_b64 s[10:11], s[10:11], 2
	s_add_u32 s7, s12, s14
	s_addc_u32 s12, s13, s15
	s_add_u32 s0, s7, s0
	v_add3_u32 v7, v6, 0, 0x80
	s_addc_u32 s1, s12, s1
	v_lshlrev_b64 v[2:3], 2, v[2:3]
	s_add_u32 s0, s0, s10
	s_addc_u32 s1, s1, s11
	v_mov_b32_e32 v5, v1
	v_mov_b32_e32 v8, v7
	;; [unrolled: 1-line block ×3, first 2 shown]
	v_add_co_u32 v2, s0, s0, v2
	v_add_co_ci_u32_e64 v3, null, s1, v3, s0
	s_lshl_b64 s[10:11], s[16:17], 12
	.p2align	6
.LBB12_4:                               ; =>This Inner Loop Header: Depth=1
	global_load_dword v9, v[2:3], off
	v_add_co_u32 v4, s0, 0x400, v4
	v_add_co_ci_u32_e64 v5, null, 0, v5, s0
	v_add_co_u32 v2, s0, v2, s10
	v_add_co_ci_u32_e64 v3, null, s11, v3, s0
	v_cmp_le_i64_e64 s1, s[2:3], v[4:5]
	s_or_b32 s5, s1, s5
	s_waitcnt vmcnt(0)
	ds_write_b32 v8, v9
	v_add_nc_u32_e32 v8, 0x1000, v8
	s_andn2_b32 exec_lo, exec_lo, s5
	s_cbranch_execnz .LBB12_4
; %bb.5:
	s_or_b32 exec_lo, exec_lo, s5
	s_add_i32 s5, s30, s28
	s_add_i32 s7, s29, s9
	s_lshl_b64 s[0:1], s[4:5], 2
	s_lshl_b64 s[10:11], s[6:7], 2
	v_mov_b32_e32 v5, v1
	s_add_u32 s5, s0, s10
	s_addc_u32 s7, s1, s11
	s_lshl_b64 s[0:1], s[26:27], 2
	v_mov_b32_e32 v8, 0
	s_add_u32 s0, s5, s0
	s_addc_u32 s1, s7, s1
	s_add_u32 s0, s24, s0
	s_addc_u32 s1, s25, s1
	v_add_co_u32 v2, s0, s0, v6
	v_add_co_ci_u32_e64 v3, null, s1, 0, s0
	v_mov_b32_e32 v4, v0
	s_mov_b32 s5, 0
	.p2align	6
.LBB12_6:                               ; =>This Inner Loop Header: Depth=1
	global_load_dword v9, v[2:3], off
	ds_read_b32 v10, v7
	v_add_co_u32 v4, s0, 0x400, v4
	v_add_co_ci_u32_e64 v5, null, 0, v5, s0
	v_add_co_u32 v2, s0, 0x1000, v2
	v_add_co_ci_u32_e64 v3, null, 0, v3, s0
	v_cmp_le_i64_e64 s1, s[2:3], v[4:5]
	v_add_nc_u32_e32 v7, 0x1000, v7
	s_or_b32 s5, s1, s5
	s_waitcnt vmcnt(0) lgkmcnt(0)
	v_fmac_f32_e32 v8, v9, v10
	s_andn2_b32 exec_lo, exec_lo, s5
	s_cbranch_execnz .LBB12_6
; %bb.7:
	s_or_b32 exec_lo, exec_lo, s5
.LBB12_8:
	s_or_b32 exec_lo, exec_lo, s31
	v_mbcnt_lo_u32_b32 v2, -1, 0
	s_mov_b32 s1, exec_lo
	v_cmp_ne_u32_e64 s0, 31, v2
	v_add_co_ci_u32_e64 v3, null, 0, v2, s0
	v_cmp_gt_u32_e64 s0, 30, v2
	v_lshlrev_b32_e32 v3, 2, v3
	v_cndmask_b32_e64 v4, 0, 2, s0
	v_cmp_gt_u32_e64 s0, 28, v2
	ds_bpermute_b32 v3, v3, v8
	v_add_lshl_u32 v4, v4, v2, 2
	v_cndmask_b32_e64 v5, 0, 4, s0
	v_cmp_gt_u32_e64 s0, 24, v2
	v_add_lshl_u32 v5, v5, v2, 2
	s_waitcnt lgkmcnt(0)
	v_add_f32_e32 v3, v8, v3
	ds_bpermute_b32 v4, v4, v3
	s_waitcnt lgkmcnt(0)
	v_add_f32_e32 v3, v3, v4
	ds_bpermute_b32 v4, v5, v3
	v_cndmask_b32_e64 v5, 0, 8, s0
	v_add_lshl_u32 v5, v5, v2, 2
	v_lshl_or_b32 v2, v2, 2, 64
	s_waitcnt lgkmcnt(0)
	v_add_f32_e32 v3, v3, v4
	ds_bpermute_b32 v4, v5, v3
	s_waitcnt lgkmcnt(0)
	v_add_f32_e32 v3, v3, v4
	v_and_b32_e32 v4, 31, v0
	ds_bpermute_b32 v2, v2, v3
	s_waitcnt lgkmcnt(0)
	v_add_f32_e32 v2, v3, v2
	v_cmpx_eq_u32_e32 0, v4
; %bb.9:
	v_lshrrev_b32_e32 v3, 3, v0
	v_add_nc_u32_e32 v3, 0, v3
	ds_write_b32 v3, v2
; %bb.10:
	s_or_b32 exec_lo, exec_lo, s1
	s_mov_b32 s1, exec_lo
	s_waitcnt lgkmcnt(0)
	s_barrier
	buffer_gl0_inv
	v_cmpx_eq_u32_e32 0, v0
	s_cbranch_execz .LBB12_12
; %bb.11:
	v_mov_b32_e32 v13, 0
	ds_read2_b32 v[3:4], v13 offset0:1 offset1:2
	ds_read2_b32 v[7:8], v13 offset0:3 offset1:4
	;; [unrolled: 1-line block ×4, first 2 shown]
	s_waitcnt lgkmcnt(3)
	v_add_f32_e32 v2, v2, v3
	v_add_f32_e32 v2, v2, v4
	s_waitcnt lgkmcnt(2)
	v_add_f32_e32 v2, v2, v7
	v_add_f32_e32 v4, v2, v8
	ds_read2_b32 v[2:3], v13 offset0:9 offset1:10
	s_waitcnt lgkmcnt(2)
	v_add_f32_e32 v4, v4, v9
	v_add_f32_e32 v7, v4, v10
	ds_read2_b32 v[4:5], v13 offset0:11 offset1:12
	;; [unrolled: 4-line block ×3, first 2 shown]
	ds_read2_b32 v[9:10], v13 offset0:15 offset1:16
	s_waitcnt lgkmcnt(3)
	v_add_f32_e32 v2, v11, v2
	v_add_f32_e32 v2, v2, v3
	s_waitcnt lgkmcnt(2)
	v_add_f32_e32 v2, v2, v4
	v_add_f32_e32 v4, v2, v5
	ds_read2_b32 v[2:3], v13 offset0:17 offset1:18
	s_waitcnt lgkmcnt(2)
	v_add_f32_e32 v4, v4, v7
	v_add_f32_e32 v7, v4, v8
	ds_read2_b32 v[4:5], v13 offset0:19 offset1:20
	;; [unrolled: 4-line block ×3, first 2 shown]
	ds_read2_b32 v[9:10], v13 offset0:23 offset1:24
	s_waitcnt lgkmcnt(3)
	v_add_f32_e32 v2, v11, v2
	v_add_f32_e32 v2, v2, v3
	s_waitcnt lgkmcnt(2)
	v_add_f32_e32 v2, v2, v4
	v_add_f32_e32 v2, v2, v5
	s_waitcnt lgkmcnt(1)
	v_add_f32_e32 v4, v2, v7
	ds_read2_b32 v[2:3], v13 offset0:25 offset1:26
	v_add_f32_e32 v4, v4, v8
	s_waitcnt lgkmcnt(1)
	v_add_f32_e32 v7, v4, v9
	ds_read2_b32 v[4:5], v13 offset0:27 offset1:28
	v_add_f32_e32 v9, v7, v10
	ds_read2_b32 v[7:8], v13 offset0:29 offset1:30
	ds_read_b32 v10, v13 offset:124
	s_waitcnt lgkmcnt(3)
	v_add_f32_e32 v2, v9, v2
	v_add_f32_e32 v2, v2, v3
	s_waitcnt lgkmcnt(2)
	v_add_f32_e32 v2, v2, v4
	v_add_f32_e32 v2, v2, v5
	;; [unrolled: 3-line block ×3, first 2 shown]
	s_waitcnt lgkmcnt(0)
	v_add_f32_e32 v2, v2, v10
	ds_write_b32 v13, v2
.LBB12_12:
	s_or_b32 exec_lo, exec_lo, s1
	s_waitcnt lgkmcnt(0)
	s_barrier
	buffer_gl0_inv
	s_and_saveexec_b32 s0, vcc_lo
	s_cbranch_execz .LBB12_15
; %bb.13:
	s_mul_i32 s0, s23, s8
	s_mul_hi_u32 s1, s22, s8
	v_mov_b32_e32 v2, 0
	s_add_i32 s1, s1, s0
	s_mul_i32 s0, s22, s8
	v_add3_u32 v5, v6, 0, 0x80
	s_lshl_b64 s[0:1], s[0:1], 2
	ds_read_b32 v4, v2
	s_add_u32 s0, s20, s0
	s_addc_u32 s1, s21, s1
	s_add_i32 s5, s30, s28
	s_load_dword s8, s[0:1], 0x0
	s_add_i32 s7, s29, s9
	s_lshl_b64 s[0:1], s[4:5], 2
	s_lshl_b64 s[4:5], s[6:7], 2
	s_add_u32 s4, s0, s4
	s_addc_u32 s5, s1, s5
	s_lshl_b64 s[0:1], s[26:27], 2
	s_add_u32 s0, s4, s0
	s_addc_u32 s1, s5, s1
	s_add_u32 s0, s24, s0
	s_addc_u32 s1, s25, s1
	v_add_co_u32 v2, s0, s0, v6
	v_add_co_ci_u32_e64 v3, null, s1, 0, s0
	s_mov_b32 s1, 0
	s_waitcnt lgkmcnt(0)
	v_mul_f32_e64 v4, v4, -s8
	.p2align	6
.LBB12_14:                              ; =>This Inner Loop Header: Depth=1
	global_load_dword v6, v[2:3], off
	ds_read_b32 v7, v5
	v_add_co_u32 v0, vcc_lo, 0x400, v0
	v_add_co_ci_u32_e64 v1, null, 0, v1, vcc_lo
	v_add_nc_u32_e32 v5, 0x1000, v5
	v_cmp_le_i64_e32 vcc_lo, s[2:3], v[0:1]
	s_or_b32 s1, vcc_lo, s1
	s_waitcnt vmcnt(0) lgkmcnt(0)
	v_fmac_f32_e32 v6, v4, v7
	global_store_dword v[2:3], v6, off
	v_add_co_u32 v2, s0, 0x1000, v2
	v_add_co_ci_u32_e64 v3, null, 0, v3, s0
	s_andn2_b32 exec_lo, exec_lo, s1
	s_cbranch_execnz .LBB12_14
.LBB12_15:
	s_endpgm
	.section	.rodata,"a",@progbits
	.p2align	6, 0x0
	.amdhsa_kernel _ZN9rocsolver6v33100L16larf_left_kernelILi1024EflPfEEvT1_S3_T2_lS3_lPKT0_lS4_lS3_l
		.amdhsa_group_segment_fixed_size 0
		.amdhsa_private_segment_fixed_size 0
		.amdhsa_kernarg_size 96
		.amdhsa_user_sgpr_count 6
		.amdhsa_user_sgpr_private_segment_buffer 1
		.amdhsa_user_sgpr_dispatch_ptr 0
		.amdhsa_user_sgpr_queue_ptr 0
		.amdhsa_user_sgpr_kernarg_segment_ptr 1
		.amdhsa_user_sgpr_dispatch_id 0
		.amdhsa_user_sgpr_flat_scratch_init 0
		.amdhsa_user_sgpr_private_segment_size 0
		.amdhsa_wavefront_size32 1
		.amdhsa_uses_dynamic_stack 0
		.amdhsa_system_sgpr_private_segment_wavefront_offset 0
		.amdhsa_system_sgpr_workgroup_id_x 1
		.amdhsa_system_sgpr_workgroup_id_y 1
		.amdhsa_system_sgpr_workgroup_id_z 1
		.amdhsa_system_sgpr_workgroup_info 0
		.amdhsa_system_vgpr_workitem_id 0
		.amdhsa_next_free_vgpr 14
		.amdhsa_next_free_sgpr 40
		.amdhsa_reserve_vcc 1
		.amdhsa_reserve_flat_scratch 0
		.amdhsa_float_round_mode_32 0
		.amdhsa_float_round_mode_16_64 0
		.amdhsa_float_denorm_mode_32 3
		.amdhsa_float_denorm_mode_16_64 3
		.amdhsa_dx10_clamp 1
		.amdhsa_ieee_mode 1
		.amdhsa_fp16_overflow 0
		.amdhsa_workgroup_processor_mode 1
		.amdhsa_memory_ordered 1
		.amdhsa_forward_progress 1
		.amdhsa_shared_vgpr_count 0
		.amdhsa_exception_fp_ieee_invalid_op 0
		.amdhsa_exception_fp_denorm_src 0
		.amdhsa_exception_fp_ieee_div_zero 0
		.amdhsa_exception_fp_ieee_overflow 0
		.amdhsa_exception_fp_ieee_underflow 0
		.amdhsa_exception_fp_ieee_inexact 0
		.amdhsa_exception_int_div_zero 0
	.end_amdhsa_kernel
	.section	.text._ZN9rocsolver6v33100L16larf_left_kernelILi1024EflPfEEvT1_S3_T2_lS3_lPKT0_lS4_lS3_l,"axG",@progbits,_ZN9rocsolver6v33100L16larf_left_kernelILi1024EflPfEEvT1_S3_T2_lS3_lPKT0_lS4_lS3_l,comdat
.Lfunc_end12:
	.size	_ZN9rocsolver6v33100L16larf_left_kernelILi1024EflPfEEvT1_S3_T2_lS3_lPKT0_lS4_lS3_l, .Lfunc_end12-_ZN9rocsolver6v33100L16larf_left_kernelILi1024EflPfEEvT1_S3_T2_lS3_lPKT0_lS4_lS3_l
                                        ; -- End function
	.set _ZN9rocsolver6v33100L16larf_left_kernelILi1024EflPfEEvT1_S3_T2_lS3_lPKT0_lS4_lS3_l.num_vgpr, 14
	.set _ZN9rocsolver6v33100L16larf_left_kernelILi1024EflPfEEvT1_S3_T2_lS3_lPKT0_lS4_lS3_l.num_agpr, 0
	.set _ZN9rocsolver6v33100L16larf_left_kernelILi1024EflPfEEvT1_S3_T2_lS3_lPKT0_lS4_lS3_l.numbered_sgpr, 40
	.set _ZN9rocsolver6v33100L16larf_left_kernelILi1024EflPfEEvT1_S3_T2_lS3_lPKT0_lS4_lS3_l.num_named_barrier, 0
	.set _ZN9rocsolver6v33100L16larf_left_kernelILi1024EflPfEEvT1_S3_T2_lS3_lPKT0_lS4_lS3_l.private_seg_size, 0
	.set _ZN9rocsolver6v33100L16larf_left_kernelILi1024EflPfEEvT1_S3_T2_lS3_lPKT0_lS4_lS3_l.uses_vcc, 1
	.set _ZN9rocsolver6v33100L16larf_left_kernelILi1024EflPfEEvT1_S3_T2_lS3_lPKT0_lS4_lS3_l.uses_flat_scratch, 0
	.set _ZN9rocsolver6v33100L16larf_left_kernelILi1024EflPfEEvT1_S3_T2_lS3_lPKT0_lS4_lS3_l.has_dyn_sized_stack, 0
	.set _ZN9rocsolver6v33100L16larf_left_kernelILi1024EflPfEEvT1_S3_T2_lS3_lPKT0_lS4_lS3_l.has_recursion, 0
	.set _ZN9rocsolver6v33100L16larf_left_kernelILi1024EflPfEEvT1_S3_T2_lS3_lPKT0_lS4_lS3_l.has_indirect_call, 0
	.section	.AMDGPU.csdata,"",@progbits
; Kernel info:
; codeLenInByte = 1508
; TotalNumSgprs: 42
; NumVgprs: 14
; ScratchSize: 0
; MemoryBound: 0
; FloatMode: 240
; IeeeMode: 1
; LDSByteSize: 0 bytes/workgroup (compile time only)
; SGPRBlocks: 0
; VGPRBlocks: 1
; NumSGPRsForWavesPerEU: 42
; NumVGPRsForWavesPerEU: 14
; Occupancy: 16
; WaveLimiterHint : 0
; COMPUTE_PGM_RSRC2:SCRATCH_EN: 0
; COMPUTE_PGM_RSRC2:USER_SGPR: 6
; COMPUTE_PGM_RSRC2:TRAP_HANDLER: 0
; COMPUTE_PGM_RSRC2:TGID_X_EN: 1
; COMPUTE_PGM_RSRC2:TGID_Y_EN: 1
; COMPUTE_PGM_RSRC2:TGID_Z_EN: 1
; COMPUTE_PGM_RSRC2:TIDIG_COMP_CNT: 0
	.section	.text._ZN9rocsolver6v33100L17larf_right_kernelILi1024EflPfEEvT1_S3_T2_lS3_lPKT0_lS4_lS3_l,"axG",@progbits,_ZN9rocsolver6v33100L17larf_right_kernelILi1024EflPfEEvT1_S3_T2_lS3_lPKT0_lS4_lS3_l,comdat
	.globl	_ZN9rocsolver6v33100L17larf_right_kernelILi1024EflPfEEvT1_S3_T2_lS3_lPKT0_lS4_lS3_l ; -- Begin function _ZN9rocsolver6v33100L17larf_right_kernelILi1024EflPfEEvT1_S3_T2_lS3_lPKT0_lS4_lS3_l
	.p2align	8
	.type	_ZN9rocsolver6v33100L17larf_right_kernelILi1024EflPfEEvT1_S3_T2_lS3_lPKT0_lS4_lS3_l,@function
_ZN9rocsolver6v33100L17larf_right_kernelILi1024EflPfEEvT1_S3_T2_lS3_lPKT0_lS4_lS3_l: ; @_ZN9rocsolver6v33100L17larf_right_kernelILi1024EflPfEEvT1_S3_T2_lS3_lPKT0_lS4_lS3_l
; %bb.0:
	s_load_dwordx16 s[12:27], s[4:5], 0x8
	s_mov_b32 s2, s7
	s_waitcnt lgkmcnt(0)
	v_cmp_gt_i64_e64 s0, s[18:19], 0
	s_and_b32 vcc_lo, exec_lo, s0
	s_mov_b64 s[0:1], 0
	s_cbranch_vccnz .LBB13_2
; %bb.1:
	s_sub_u32 s0, 1, s12
	s_subb_u32 s1, 0, s13
	s_mul_hi_u32 s3, s18, s0
	s_mul_i32 s1, s18, s1
	s_mul_i32 s6, s19, s0
	s_add_i32 s1, s3, s1
	s_mul_i32 s0, s18, s0
	s_add_i32 s1, s1, s6
.LBB13_2:
	s_clause 0x1
	s_load_dwordx2 s[10:11], s[4:5], 0x58
	s_load_dwordx4 s[4:7], s[4:5], 0x48
	v_mov_b32_e32 v1, 0
	v_lshlrev_b32_e32 v6, 2, v0
	s_mov_b32 s3, 0
	v_cmp_gt_i64_e32 vcc_lo, s[12:13], v[0:1]
	v_mov_b32_e32 v8, v1
	s_waitcnt lgkmcnt(0)
	s_mul_i32 s9, s11, s8
	s_mul_hi_u32 s28, s10, s8
	s_mul_i32 s10, s10, s8
	s_and_saveexec_b32 s29, vcc_lo
	s_cbranch_execz .LBB13_8
; %bb.3:
	v_mad_u64_u32 v[2:3], null, s18, v0, 0
	s_mul_i32 s11, s21, s8
	s_mul_hi_u32 s21, s20, s8
	s_mul_i32 s20, s20, s8
	s_add_i32 s21, s21, s11
	s_lshl_b64 s[16:17], s[16:17], 2
	s_lshl_b64 s[0:1], s[0:1], 2
	v_mad_u64_u32 v[3:4], null, s19, v0, v[3:4]
	s_lshl_b64 s[20:21], s[20:21], 2
	s_add_u32 s11, s14, s16
	s_addc_u32 s14, s15, s17
	s_add_u32 s0, s11, s0
	v_add3_u32 v7, v6, 0, 0x80
	s_addc_u32 s1, s14, s1
	v_lshlrev_b64 v[2:3], 2, v[2:3]
	s_add_u32 s0, s0, s20
	s_addc_u32 s1, s1, s21
	v_mov_b32_e32 v5, v1
	v_mov_b32_e32 v8, v7
	;; [unrolled: 1-line block ×3, first 2 shown]
	v_add_co_u32 v2, s0, s0, v2
	v_add_co_ci_u32_e64 v3, null, s1, v3, s0
	s_lshl_b64 s[14:15], s[18:19], 12
	s_mov_b32 s11, s3
	.p2align	6
.LBB13_4:                               ; =>This Inner Loop Header: Depth=1
	global_load_dword v9, v[2:3], off
	v_add_co_u32 v4, s0, 0x400, v4
	v_add_co_ci_u32_e64 v5, null, 0, v5, s0
	v_add_co_u32 v2, s0, v2, s14
	v_add_co_ci_u32_e64 v3, null, s15, v3, s0
	v_cmp_le_i64_e64 s1, s[12:13], v[4:5]
	s_or_b32 s11, s1, s11
	s_waitcnt vmcnt(0)
	ds_write_b32 v8, v9
	v_add_nc_u32_e32 v8, 0x1000, v8
	s_andn2_b32 exec_lo, exec_lo, s11
	s_cbranch_execnz .LBB13_4
; %bb.5:
	s_or_b32 exec_lo, exec_lo, s11
	v_mad_u64_u32 v[2:3], null, s6, v0, 0
	s_add_i32 s11, s28, s9
	s_lshl_b64 s[14:15], s[2:3], 2
	s_lshl_b64 s[0:1], s[4:5], 2
	;; [unrolled: 1-line block ×3, first 2 shown]
	s_add_u32 s11, s26, s14
	s_addc_u32 s14, s27, s15
	v_mad_u64_u32 v[3:4], null, s7, v0, v[3:4]
	s_add_u32 s0, s11, s0
	s_addc_u32 s1, s14, s1
	s_add_u32 s0, s0, s16
	s_addc_u32 s1, s1, s17
	v_mov_b32_e32 v5, v1
	v_mov_b32_e32 v8, 0
	v_lshlrev_b64 v[2:3], 2, v[2:3]
	v_mov_b32_e32 v4, v0
	s_lshl_b64 s[14:15], s[6:7], 12
	s_mov_b32 s11, 0
	v_add_co_u32 v2, s0, s0, v2
	v_add_co_ci_u32_e64 v3, null, s1, v3, s0
	.p2align	6
.LBB13_6:                               ; =>This Inner Loop Header: Depth=1
	global_load_dword v9, v[2:3], off
	ds_read_b32 v10, v7
	v_add_co_u32 v4, s0, 0x400, v4
	v_add_co_ci_u32_e64 v5, null, 0, v5, s0
	v_add_co_u32 v2, s0, v2, s14
	v_add_co_ci_u32_e64 v3, null, s15, v3, s0
	v_cmp_le_i64_e64 s1, s[12:13], v[4:5]
	v_add_nc_u32_e32 v7, 0x1000, v7
	s_or_b32 s11, s1, s11
	s_waitcnt vmcnt(0) lgkmcnt(0)
	v_fmac_f32_e32 v8, v9, v10
	s_andn2_b32 exec_lo, exec_lo, s11
	s_cbranch_execnz .LBB13_6
; %bb.7:
	s_or_b32 exec_lo, exec_lo, s11
.LBB13_8:
	s_or_b32 exec_lo, exec_lo, s29
	v_mbcnt_lo_u32_b32 v2, -1, 0
	s_mov_b32 s1, exec_lo
	v_cmp_ne_u32_e64 s0, 31, v2
	v_add_co_ci_u32_e64 v3, null, 0, v2, s0
	v_cmp_gt_u32_e64 s0, 30, v2
	v_lshlrev_b32_e32 v3, 2, v3
	v_cndmask_b32_e64 v4, 0, 2, s0
	v_cmp_gt_u32_e64 s0, 28, v2
	ds_bpermute_b32 v3, v3, v8
	v_add_lshl_u32 v4, v4, v2, 2
	v_cndmask_b32_e64 v5, 0, 4, s0
	v_cmp_gt_u32_e64 s0, 24, v2
	v_add_lshl_u32 v5, v5, v2, 2
	s_waitcnt lgkmcnt(0)
	v_add_f32_e32 v3, v8, v3
	ds_bpermute_b32 v4, v4, v3
	s_waitcnt lgkmcnt(0)
	v_add_f32_e32 v3, v3, v4
	ds_bpermute_b32 v4, v5, v3
	v_cndmask_b32_e64 v5, 0, 8, s0
	v_add_lshl_u32 v5, v5, v2, 2
	v_lshl_or_b32 v2, v2, 2, 64
	s_waitcnt lgkmcnt(0)
	v_add_f32_e32 v3, v3, v4
	ds_bpermute_b32 v4, v5, v3
	s_waitcnt lgkmcnt(0)
	v_add_f32_e32 v3, v3, v4
	v_and_b32_e32 v4, 31, v0
	ds_bpermute_b32 v2, v2, v3
	s_waitcnt lgkmcnt(0)
	v_add_f32_e32 v2, v3, v2
	v_cmpx_eq_u32_e32 0, v4
; %bb.9:
	v_lshrrev_b32_e32 v3, 3, v0
	v_add_nc_u32_e32 v3, 0, v3
	ds_write_b32 v3, v2
; %bb.10:
	s_or_b32 exec_lo, exec_lo, s1
	s_mov_b32 s1, exec_lo
	s_waitcnt lgkmcnt(0)
	s_barrier
	buffer_gl0_inv
	v_cmpx_eq_u32_e32 0, v0
	s_cbranch_execz .LBB13_12
; %bb.11:
	v_mov_b32_e32 v13, 0
	ds_read2_b32 v[3:4], v13 offset0:1 offset1:2
	ds_read2_b32 v[7:8], v13 offset0:3 offset1:4
	;; [unrolled: 1-line block ×4, first 2 shown]
	s_waitcnt lgkmcnt(3)
	v_add_f32_e32 v2, v2, v3
	v_add_f32_e32 v2, v2, v4
	s_waitcnt lgkmcnt(2)
	v_add_f32_e32 v2, v2, v7
	v_add_f32_e32 v4, v2, v8
	ds_read2_b32 v[2:3], v13 offset0:9 offset1:10
	s_waitcnt lgkmcnt(2)
	v_add_f32_e32 v4, v4, v9
	v_add_f32_e32 v7, v4, v10
	ds_read2_b32 v[4:5], v13 offset0:11 offset1:12
	s_waitcnt lgkmcnt(2)
	v_add_f32_e32 v7, v7, v11
	v_add_f32_e32 v11, v7, v12
	ds_read2_b32 v[7:8], v13 offset0:13 offset1:14
	ds_read2_b32 v[9:10], v13 offset0:15 offset1:16
	s_waitcnt lgkmcnt(3)
	v_add_f32_e32 v2, v11, v2
	v_add_f32_e32 v2, v2, v3
	s_waitcnt lgkmcnt(2)
	v_add_f32_e32 v2, v2, v4
	v_add_f32_e32 v4, v2, v5
	ds_read2_b32 v[2:3], v13 offset0:17 offset1:18
	s_waitcnt lgkmcnt(2)
	v_add_f32_e32 v4, v4, v7
	v_add_f32_e32 v7, v4, v8
	ds_read2_b32 v[4:5], v13 offset0:19 offset1:20
	;; [unrolled: 4-line block ×3, first 2 shown]
	ds_read2_b32 v[9:10], v13 offset0:23 offset1:24
	s_waitcnt lgkmcnt(3)
	v_add_f32_e32 v2, v11, v2
	v_add_f32_e32 v2, v2, v3
	s_waitcnt lgkmcnt(2)
	v_add_f32_e32 v2, v2, v4
	v_add_f32_e32 v2, v2, v5
	s_waitcnt lgkmcnt(1)
	v_add_f32_e32 v4, v2, v7
	ds_read2_b32 v[2:3], v13 offset0:25 offset1:26
	v_add_f32_e32 v4, v4, v8
	s_waitcnt lgkmcnt(1)
	v_add_f32_e32 v7, v4, v9
	ds_read2_b32 v[4:5], v13 offset0:27 offset1:28
	v_add_f32_e32 v9, v7, v10
	ds_read2_b32 v[7:8], v13 offset0:29 offset1:30
	ds_read_b32 v10, v13 offset:124
	s_waitcnt lgkmcnt(3)
	v_add_f32_e32 v2, v9, v2
	v_add_f32_e32 v2, v2, v3
	s_waitcnt lgkmcnt(2)
	v_add_f32_e32 v2, v2, v4
	v_add_f32_e32 v2, v2, v5
	s_waitcnt lgkmcnt(1)
	v_add_f32_e32 v2, v2, v7
	v_add_f32_e32 v2, v2, v8
	s_waitcnt lgkmcnt(0)
	v_add_f32_e32 v2, v2, v10
	ds_write_b32 v13, v2
.LBB13_12:
	s_or_b32 exec_lo, exec_lo, s1
	s_waitcnt lgkmcnt(0)
	s_barrier
	buffer_gl0_inv
	s_and_saveexec_b32 s0, vcc_lo
	s_cbranch_execz .LBB13_15
; %bb.13:
	s_mul_i32 s0, s25, s8
	s_mul_hi_u32 s1, s24, s8
	v_mov_b32_e32 v4, 0
	s_add_i32 s1, s1, s0
	s_mul_i32 s0, s24, s8
	v_mad_u64_u32 v[2:3], null, s6, v0, 0
	s_lshl_b64 s[0:1], s[0:1], 2
	ds_read_b32 v5, v4
	s_add_u32 s0, s22, s0
	s_addc_u32 s1, s23, s1
	s_add_i32 s11, s28, s9
	s_load_dword s8, s[0:1], 0x0
	v_mad_u64_u32 v[3:4], null, s7, v0, v[3:4]
	s_lshl_b64 s[2:3], s[2:3], 2
	s_lshl_b64 s[0:1], s[4:5], 2
	;; [unrolled: 1-line block ×3, first 2 shown]
	s_add_u32 s2, s26, s2
	s_addc_u32 s3, s27, s3
	s_add_u32 s0, s2, s0
	v_lshlrev_b64 v[2:3], 2, v[2:3]
	s_addc_u32 s1, s3, s1
	s_add_u32 s0, s0, s4
	s_addc_u32 s1, s1, s5
	s_lshl_b64 s[2:3], s[6:7], 12
	v_add_co_u32 v2, vcc_lo, s0, v2
	v_add_co_ci_u32_e64 v3, null, s1, v3, vcc_lo
	s_mov_b32 s1, 0
	s_waitcnt lgkmcnt(0)
	v_mul_f32_e64 v4, v5, -s8
	v_add3_u32 v5, v6, 0, 0x80
	.p2align	6
.LBB13_14:                              ; =>This Inner Loop Header: Depth=1
	global_load_dword v6, v[2:3], off
	ds_read_b32 v7, v5
	v_add_co_u32 v0, vcc_lo, 0x400, v0
	v_add_co_ci_u32_e64 v1, null, 0, v1, vcc_lo
	v_add_nc_u32_e32 v5, 0x1000, v5
	v_cmp_le_i64_e32 vcc_lo, s[12:13], v[0:1]
	s_or_b32 s1, vcc_lo, s1
	s_waitcnt vmcnt(0) lgkmcnt(0)
	v_fmac_f32_e32 v6, v4, v7
	global_store_dword v[2:3], v6, off
	v_add_co_u32 v2, s0, v2, s2
	v_add_co_ci_u32_e64 v3, null, s3, v3, s0
	s_andn2_b32 exec_lo, exec_lo, s1
	s_cbranch_execnz .LBB13_14
.LBB13_15:
	s_endpgm
	.section	.rodata,"a",@progbits
	.p2align	6, 0x0
	.amdhsa_kernel _ZN9rocsolver6v33100L17larf_right_kernelILi1024EflPfEEvT1_S3_T2_lS3_lPKT0_lS4_lS3_l
		.amdhsa_group_segment_fixed_size 0
		.amdhsa_private_segment_fixed_size 0
		.amdhsa_kernarg_size 96
		.amdhsa_user_sgpr_count 6
		.amdhsa_user_sgpr_private_segment_buffer 1
		.amdhsa_user_sgpr_dispatch_ptr 0
		.amdhsa_user_sgpr_queue_ptr 0
		.amdhsa_user_sgpr_kernarg_segment_ptr 1
		.amdhsa_user_sgpr_dispatch_id 0
		.amdhsa_user_sgpr_flat_scratch_init 0
		.amdhsa_user_sgpr_private_segment_size 0
		.amdhsa_wavefront_size32 1
		.amdhsa_uses_dynamic_stack 0
		.amdhsa_system_sgpr_private_segment_wavefront_offset 0
		.amdhsa_system_sgpr_workgroup_id_x 1
		.amdhsa_system_sgpr_workgroup_id_y 1
		.amdhsa_system_sgpr_workgroup_id_z 1
		.amdhsa_system_sgpr_workgroup_info 0
		.amdhsa_system_vgpr_workitem_id 0
		.amdhsa_next_free_vgpr 14
		.amdhsa_next_free_sgpr 30
		.amdhsa_reserve_vcc 1
		.amdhsa_reserve_flat_scratch 0
		.amdhsa_float_round_mode_32 0
		.amdhsa_float_round_mode_16_64 0
		.amdhsa_float_denorm_mode_32 3
		.amdhsa_float_denorm_mode_16_64 3
		.amdhsa_dx10_clamp 1
		.amdhsa_ieee_mode 1
		.amdhsa_fp16_overflow 0
		.amdhsa_workgroup_processor_mode 1
		.amdhsa_memory_ordered 1
		.amdhsa_forward_progress 1
		.amdhsa_shared_vgpr_count 0
		.amdhsa_exception_fp_ieee_invalid_op 0
		.amdhsa_exception_fp_denorm_src 0
		.amdhsa_exception_fp_ieee_div_zero 0
		.amdhsa_exception_fp_ieee_overflow 0
		.amdhsa_exception_fp_ieee_underflow 0
		.amdhsa_exception_fp_ieee_inexact 0
		.amdhsa_exception_int_div_zero 0
	.end_amdhsa_kernel
	.section	.text._ZN9rocsolver6v33100L17larf_right_kernelILi1024EflPfEEvT1_S3_T2_lS3_lPKT0_lS4_lS3_l,"axG",@progbits,_ZN9rocsolver6v33100L17larf_right_kernelILi1024EflPfEEvT1_S3_T2_lS3_lPKT0_lS4_lS3_l,comdat
.Lfunc_end13:
	.size	_ZN9rocsolver6v33100L17larf_right_kernelILi1024EflPfEEvT1_S3_T2_lS3_lPKT0_lS4_lS3_l, .Lfunc_end13-_ZN9rocsolver6v33100L17larf_right_kernelILi1024EflPfEEvT1_S3_T2_lS3_lPKT0_lS4_lS3_l
                                        ; -- End function
	.set _ZN9rocsolver6v33100L17larf_right_kernelILi1024EflPfEEvT1_S3_T2_lS3_lPKT0_lS4_lS3_l.num_vgpr, 14
	.set _ZN9rocsolver6v33100L17larf_right_kernelILi1024EflPfEEvT1_S3_T2_lS3_lPKT0_lS4_lS3_l.num_agpr, 0
	.set _ZN9rocsolver6v33100L17larf_right_kernelILi1024EflPfEEvT1_S3_T2_lS3_lPKT0_lS4_lS3_l.numbered_sgpr, 30
	.set _ZN9rocsolver6v33100L17larf_right_kernelILi1024EflPfEEvT1_S3_T2_lS3_lPKT0_lS4_lS3_l.num_named_barrier, 0
	.set _ZN9rocsolver6v33100L17larf_right_kernelILi1024EflPfEEvT1_S3_T2_lS3_lPKT0_lS4_lS3_l.private_seg_size, 0
	.set _ZN9rocsolver6v33100L17larf_right_kernelILi1024EflPfEEvT1_S3_T2_lS3_lPKT0_lS4_lS3_l.uses_vcc, 1
	.set _ZN9rocsolver6v33100L17larf_right_kernelILi1024EflPfEEvT1_S3_T2_lS3_lPKT0_lS4_lS3_l.uses_flat_scratch, 0
	.set _ZN9rocsolver6v33100L17larf_right_kernelILi1024EflPfEEvT1_S3_T2_lS3_lPKT0_lS4_lS3_l.has_dyn_sized_stack, 0
	.set _ZN9rocsolver6v33100L17larf_right_kernelILi1024EflPfEEvT1_S3_T2_lS3_lPKT0_lS4_lS3_l.has_recursion, 0
	.set _ZN9rocsolver6v33100L17larf_right_kernelILi1024EflPfEEvT1_S3_T2_lS3_lPKT0_lS4_lS3_l.has_indirect_call, 0
	.section	.AMDGPU.csdata,"",@progbits
; Kernel info:
; codeLenInByte = 1440
; TotalNumSgprs: 32
; NumVgprs: 14
; ScratchSize: 0
; MemoryBound: 0
; FloatMode: 240
; IeeeMode: 1
; LDSByteSize: 0 bytes/workgroup (compile time only)
; SGPRBlocks: 0
; VGPRBlocks: 1
; NumSGPRsForWavesPerEU: 32
; NumVGPRsForWavesPerEU: 14
; Occupancy: 16
; WaveLimiterHint : 0
; COMPUTE_PGM_RSRC2:SCRATCH_EN: 0
; COMPUTE_PGM_RSRC2:USER_SGPR: 6
; COMPUTE_PGM_RSRC2:TRAP_HANDLER: 0
; COMPUTE_PGM_RSRC2:TGID_X_EN: 1
; COMPUTE_PGM_RSRC2:TGID_Y_EN: 1
; COMPUTE_PGM_RSRC2:TGID_Z_EN: 1
; COMPUTE_PGM_RSRC2:TIDIG_COMP_CNT: 0
	.section	.text._ZN9rocsolver6v33100L16larf_left_kernelILi1024EdlPdEEvT1_S3_T2_lS3_lPKT0_lS4_lS3_l,"axG",@progbits,_ZN9rocsolver6v33100L16larf_left_kernelILi1024EdlPdEEvT1_S3_T2_lS3_lPKT0_lS4_lS3_l,comdat
	.globl	_ZN9rocsolver6v33100L16larf_left_kernelILi1024EdlPdEEvT1_S3_T2_lS3_lPKT0_lS4_lS3_l ; -- Begin function _ZN9rocsolver6v33100L16larf_left_kernelILi1024EdlPdEEvT1_S3_T2_lS3_lPKT0_lS4_lS3_l
	.p2align	8
	.type	_ZN9rocsolver6v33100L16larf_left_kernelILi1024EdlPdEEvT1_S3_T2_lS3_lPKT0_lS4_lS3_l,@function
_ZN9rocsolver6v33100L16larf_left_kernelILi1024EdlPdEEvT1_S3_T2_lS3_lPKT0_lS4_lS3_l: ; @_ZN9rocsolver6v33100L16larf_left_kernelILi1024EdlPdEEvT1_S3_T2_lS3_lPKT0_lS4_lS3_l
; %bb.0:
	s_clause 0x1
	s_load_dwordx16 s[12:27], s[4:5], 0x10
	s_load_dwordx2 s[2:3], s[4:5], 0x0
	s_waitcnt lgkmcnt(0)
	v_cmp_gt_i64_e64 s0, s[16:17], 0
	s_and_b32 vcc_lo, exec_lo, s0
	s_mov_b64 s[0:1], 0
	s_cbranch_vccnz .LBB14_2
; %bb.1:
	s_sub_u32 s0, 1, s2
	s_subb_u32 s1, 0, s3
	s_mul_hi_u32 s6, s16, s0
	s_mul_i32 s1, s16, s1
	s_mul_i32 s9, s17, s0
	s_add_i32 s1, s6, s1
	s_mul_i32 s0, s16, s0
	s_add_i32 s1, s1, s9
.LBB14_2:
	s_load_dwordx4 s[36:39], s[4:5], 0x50
	v_mov_b32_e32 v1, 0
	v_mov_b32_e32 v2, 0
	;; [unrolled: 1-line block ×3, first 2 shown]
	v_lshlrev_b32_e32 v8, 3, v0
	s_mov_b32 s5, 0
	v_cmp_gt_i64_e32 vcc_lo, s[2:3], v[0:1]
	s_waitcnt lgkmcnt(0)
	s_mul_i32 s28, s39, s8
	s_mul_hi_u32 s30, s38, s8
	s_mul_i32 s4, s38, s8
	s_mul_i32 s9, s37, s7
	s_mul_hi_u32 s29, s36, s7
	s_mul_i32 s6, s36, s7
	s_and_saveexec_b32 s31, vcc_lo
	s_cbranch_execz .LBB14_8
; %bb.3:
	v_mad_u64_u32 v[2:3], null, s16, v0, 0
	s_mul_i32 s7, s19, s8
	s_mul_hi_u32 s11, s18, s8
	s_mul_i32 s10, s18, s8
	s_add_i32 s11, s11, s7
	s_lshl_b64 s[14:15], s[14:15], 3
	s_lshl_b64 s[0:1], s[0:1], 3
	v_mad_u64_u32 v[3:4], null, s17, v0, v[3:4]
	s_lshl_b64 s[10:11], s[10:11], 3
	s_add_u32 s7, s12, s14
	s_addc_u32 s12, s13, s15
	s_add_u32 s0, s7, s0
	v_add3_u32 v9, v8, 0, 0x100
	s_addc_u32 s1, s12, s1
	v_lshlrev_b64 v[2:3], 3, v[2:3]
	s_add_u32 s0, s0, s10
	s_addc_u32 s1, s1, s11
	v_mov_b32_e32 v5, v1
	v_mov_b32_e32 v6, v9
	;; [unrolled: 1-line block ×3, first 2 shown]
	v_add_co_u32 v2, s0, s0, v2
	v_add_co_ci_u32_e64 v3, null, s1, v3, s0
	s_lshl_b64 s[10:11], s[16:17], 13
	.p2align	6
.LBB14_4:                               ; =>This Inner Loop Header: Depth=1
	global_load_dwordx2 v[10:11], v[2:3], off
	v_add_co_u32 v4, s0, 0x400, v4
	v_add_co_ci_u32_e64 v5, null, 0, v5, s0
	v_add_co_u32 v2, s0, v2, s10
	v_add_co_ci_u32_e64 v3, null, s11, v3, s0
	v_cmp_le_i64_e64 s1, s[2:3], v[4:5]
	s_or_b32 s5, s1, s5
	s_waitcnt vmcnt(0)
	ds_write_b64 v6, v[10:11]
	v_add_nc_u32_e32 v6, 0x2000, v6
	s_andn2_b32 exec_lo, exec_lo, s5
	s_cbranch_execnz .LBB14_4
; %bb.5:
	s_or_b32 exec_lo, exec_lo, s5
	s_add_i32 s5, s30, s28
	s_add_i32 s7, s29, s9
	s_lshl_b64 s[0:1], s[4:5], 3
	s_lshl_b64 s[10:11], s[6:7], 3
	v_mov_b32_e32 v2, 0
	s_add_u32 s5, s0, s10
	s_addc_u32 s7, s1, s11
	s_lshl_b64 s[0:1], s[26:27], 3
	v_mov_b32_e32 v7, v1
	s_add_u32 s0, s5, s0
	s_addc_u32 s1, s7, s1
	s_add_u32 s0, s24, s0
	s_addc_u32 s1, s25, s1
	v_add_co_u32 v4, s0, s0, v8
	v_add_co_ci_u32_e64 v5, null, s1, 0, s0
	v_mov_b32_e32 v3, 0
	v_mov_b32_e32 v6, v0
	s_mov_b32 s5, 0
	.p2align	6
.LBB14_6:                               ; =>This Inner Loop Header: Depth=1
	global_load_dwordx2 v[10:11], v[4:5], off
	ds_read_b64 v[12:13], v9
	v_add_co_u32 v6, s0, 0x400, v6
	v_add_co_ci_u32_e64 v7, null, 0, v7, s0
	v_add_co_u32 v4, s1, 0x2000, v4
	v_add_co_ci_u32_e64 v5, null, 0, v5, s1
	v_cmp_le_i64_e64 s0, s[2:3], v[6:7]
	v_add_nc_u32_e32 v9, 0x2000, v9
	s_or_b32 s5, s0, s5
	s_waitcnt vmcnt(0) lgkmcnt(0)
	v_fma_f64 v[2:3], v[10:11], v[12:13], v[2:3]
	s_andn2_b32 exec_lo, exec_lo, s5
	s_cbranch_execnz .LBB14_6
; %bb.7:
	s_or_b32 exec_lo, exec_lo, s5
.LBB14_8:
	s_or_b32 exec_lo, exec_lo, s31
	v_mbcnt_lo_u32_b32 v6, -1, 0
	s_mov_b32 s1, exec_lo
	v_cmp_ne_u32_e64 s0, 31, v6
	v_add_co_ci_u32_e64 v4, null, 0, v6, s0
	v_cmp_gt_u32_e64 s0, 30, v6
	v_lshlrev_b32_e32 v5, 2, v4
	ds_bpermute_b32 v4, v5, v2
	ds_bpermute_b32 v5, v5, v3
	s_waitcnt lgkmcnt(0)
	v_add_f64 v[2:3], v[2:3], v[4:5]
	v_cndmask_b32_e64 v4, 0, 2, s0
	v_cmp_gt_u32_e64 s0, 28, v6
	v_add_lshl_u32 v5, v4, v6, 2
	ds_bpermute_b32 v4, v5, v2
	ds_bpermute_b32 v5, v5, v3
	s_waitcnt lgkmcnt(0)
	v_add_f64 v[2:3], v[2:3], v[4:5]
	v_cndmask_b32_e64 v4, 0, 4, s0
	v_cmp_gt_u32_e64 s0, 24, v6
	v_add_lshl_u32 v5, v4, v6, 2
	ds_bpermute_b32 v4, v5, v2
	ds_bpermute_b32 v5, v5, v3
	s_waitcnt lgkmcnt(0)
	v_add_f64 v[2:3], v[2:3], v[4:5]
	v_cndmask_b32_e64 v4, 0, 8, s0
	v_add_lshl_u32 v5, v4, v6, 2
	ds_bpermute_b32 v4, v5, v2
	ds_bpermute_b32 v5, v5, v3
	s_waitcnt lgkmcnt(0)
	v_add_f64 v[2:3], v[2:3], v[4:5]
	v_lshl_or_b32 v5, v6, 2, 64
	ds_bpermute_b32 v4, v5, v2
	ds_bpermute_b32 v5, v5, v3
	s_waitcnt lgkmcnt(0)
	v_add_f64 v[2:3], v[2:3], v[4:5]
	v_and_b32_e32 v4, 31, v0
	v_cmpx_eq_u32_e32 0, v4
; %bb.9:
	v_lshrrev_b32_e32 v4, 2, v0
	v_add_nc_u32_e32 v4, 0, v4
	ds_write_b64 v4, v[2:3]
; %bb.10:
	s_or_b32 exec_lo, exec_lo, s1
	s_mov_b32 s1, exec_lo
	s_waitcnt lgkmcnt(0)
	s_barrier
	buffer_gl0_inv
	v_cmpx_eq_u32_e32 0, v0
	s_cbranch_execz .LBB14_12
; %bb.11:
	v_mov_b32_e32 v13, 0
	ds_read2_b64 v[4:7], v13 offset0:1 offset1:2
	ds_read2_b64 v[9:12], v13 offset0:3 offset1:4
	s_waitcnt lgkmcnt(1)
	v_add_f64 v[2:3], v[2:3], v[4:5]
	v_add_f64 v[2:3], v[2:3], v[6:7]
	s_waitcnt lgkmcnt(0)
	v_add_f64 v[2:3], v[2:3], v[9:10]
	v_add_f64 v[6:7], v[2:3], v[11:12]
	ds_read2_b64 v[2:5], v13 offset0:5 offset1:6
	ds_read2_b64 v[9:12], v13 offset0:7 offset1:8
	s_waitcnt lgkmcnt(1)
	v_add_f64 v[2:3], v[6:7], v[2:3]
	v_add_f64 v[2:3], v[2:3], v[4:5]
	s_waitcnt lgkmcnt(0)
	v_add_f64 v[2:3], v[2:3], v[9:10]
	v_add_f64 v[6:7], v[2:3], v[11:12]
	;; [unrolled: 8-line block ×7, first 2 shown]
	ds_read2_b64 v[2:5], v13 offset0:29 offset1:30
	ds_read_b64 v[9:10], v13 offset:248
	s_waitcnt lgkmcnt(1)
	v_add_f64 v[2:3], v[6:7], v[2:3]
	v_add_f64 v[2:3], v[2:3], v[4:5]
	s_waitcnt lgkmcnt(0)
	v_add_f64 v[2:3], v[2:3], v[9:10]
	ds_write_b64 v13, v[2:3]
.LBB14_12:
	s_or_b32 exec_lo, exec_lo, s1
	s_waitcnt lgkmcnt(0)
	s_barrier
	buffer_gl0_inv
	s_and_saveexec_b32 s0, vcc_lo
	s_cbranch_execz .LBB14_15
; %bb.13:
	s_mul_i32 s0, s23, s8
	s_mul_hi_u32 s1, s22, s8
	v_mov_b32_e32 v2, 0
	s_add_i32 s1, s1, s0
	s_mul_i32 s0, s22, s8
	v_add3_u32 v6, v8, 0, 0x100
	s_lshl_b64 s[0:1], s[0:1], 3
	ds_read_b64 v[2:3], v2
	s_add_u32 s0, s20, s0
	s_addc_u32 s1, s21, s1
	s_add_i32 s5, s30, s28
	s_load_dwordx2 s[0:1], s[0:1], 0x0
	s_add_i32 s7, s29, s9
	s_waitcnt lgkmcnt(0)
	v_mul_f64 v[2:3], v[2:3], -s[0:1]
	s_lshl_b64 s[0:1], s[4:5], 3
	s_lshl_b64 s[4:5], s[6:7], 3
	s_add_u32 s4, s0, s4
	s_addc_u32 s5, s1, s5
	s_lshl_b64 s[0:1], s[26:27], 3
	s_add_u32 s0, s4, s0
	s_addc_u32 s1, s5, s1
	s_add_u32 s0, s24, s0
	s_addc_u32 s1, s25, s1
	v_add_co_u32 v4, s0, s0, v8
	v_add_co_ci_u32_e64 v5, null, s1, 0, s0
	s_mov_b32 s1, 0
	.p2align	6
.LBB14_14:                              ; =>This Inner Loop Header: Depth=1
	global_load_dwordx2 v[7:8], v[4:5], off
	ds_read_b64 v[9:10], v6
	v_add_co_u32 v0, vcc_lo, 0x400, v0
	v_add_co_ci_u32_e64 v1, null, 0, v1, vcc_lo
	v_add_nc_u32_e32 v6, 0x2000, v6
	v_cmp_le_i64_e32 vcc_lo, s[2:3], v[0:1]
	s_or_b32 s1, vcc_lo, s1
	s_waitcnt vmcnt(0) lgkmcnt(0)
	v_fma_f64 v[7:8], v[2:3], v[9:10], v[7:8]
	global_store_dwordx2 v[4:5], v[7:8], off
	v_add_co_u32 v4, s0, 0x2000, v4
	v_add_co_ci_u32_e64 v5, null, 0, v5, s0
	s_andn2_b32 exec_lo, exec_lo, s1
	s_cbranch_execnz .LBB14_14
.LBB14_15:
	s_endpgm
	.section	.rodata,"a",@progbits
	.p2align	6, 0x0
	.amdhsa_kernel _ZN9rocsolver6v33100L16larf_left_kernelILi1024EdlPdEEvT1_S3_T2_lS3_lPKT0_lS4_lS3_l
		.amdhsa_group_segment_fixed_size 0
		.amdhsa_private_segment_fixed_size 0
		.amdhsa_kernarg_size 96
		.amdhsa_user_sgpr_count 6
		.amdhsa_user_sgpr_private_segment_buffer 1
		.amdhsa_user_sgpr_dispatch_ptr 0
		.amdhsa_user_sgpr_queue_ptr 0
		.amdhsa_user_sgpr_kernarg_segment_ptr 1
		.amdhsa_user_sgpr_dispatch_id 0
		.amdhsa_user_sgpr_flat_scratch_init 0
		.amdhsa_user_sgpr_private_segment_size 0
		.amdhsa_wavefront_size32 1
		.amdhsa_uses_dynamic_stack 0
		.amdhsa_system_sgpr_private_segment_wavefront_offset 0
		.amdhsa_system_sgpr_workgroup_id_x 1
		.amdhsa_system_sgpr_workgroup_id_y 1
		.amdhsa_system_sgpr_workgroup_id_z 1
		.amdhsa_system_sgpr_workgroup_info 0
		.amdhsa_system_vgpr_workitem_id 0
		.amdhsa_next_free_vgpr 14
		.amdhsa_next_free_sgpr 40
		.amdhsa_reserve_vcc 1
		.amdhsa_reserve_flat_scratch 0
		.amdhsa_float_round_mode_32 0
		.amdhsa_float_round_mode_16_64 0
		.amdhsa_float_denorm_mode_32 3
		.amdhsa_float_denorm_mode_16_64 3
		.amdhsa_dx10_clamp 1
		.amdhsa_ieee_mode 1
		.amdhsa_fp16_overflow 0
		.amdhsa_workgroup_processor_mode 1
		.amdhsa_memory_ordered 1
		.amdhsa_forward_progress 1
		.amdhsa_shared_vgpr_count 0
		.amdhsa_exception_fp_ieee_invalid_op 0
		.amdhsa_exception_fp_denorm_src 0
		.amdhsa_exception_fp_ieee_div_zero 0
		.amdhsa_exception_fp_ieee_overflow 0
		.amdhsa_exception_fp_ieee_underflow 0
		.amdhsa_exception_fp_ieee_inexact 0
		.amdhsa_exception_int_div_zero 0
	.end_amdhsa_kernel
	.section	.text._ZN9rocsolver6v33100L16larf_left_kernelILi1024EdlPdEEvT1_S3_T2_lS3_lPKT0_lS4_lS3_l,"axG",@progbits,_ZN9rocsolver6v33100L16larf_left_kernelILi1024EdlPdEEvT1_S3_T2_lS3_lPKT0_lS4_lS3_l,comdat
.Lfunc_end14:
	.size	_ZN9rocsolver6v33100L16larf_left_kernelILi1024EdlPdEEvT1_S3_T2_lS3_lPKT0_lS4_lS3_l, .Lfunc_end14-_ZN9rocsolver6v33100L16larf_left_kernelILi1024EdlPdEEvT1_S3_T2_lS3_lPKT0_lS4_lS3_l
                                        ; -- End function
	.set _ZN9rocsolver6v33100L16larf_left_kernelILi1024EdlPdEEvT1_S3_T2_lS3_lPKT0_lS4_lS3_l.num_vgpr, 14
	.set _ZN9rocsolver6v33100L16larf_left_kernelILi1024EdlPdEEvT1_S3_T2_lS3_lPKT0_lS4_lS3_l.num_agpr, 0
	.set _ZN9rocsolver6v33100L16larf_left_kernelILi1024EdlPdEEvT1_S3_T2_lS3_lPKT0_lS4_lS3_l.numbered_sgpr, 40
	.set _ZN9rocsolver6v33100L16larf_left_kernelILi1024EdlPdEEvT1_S3_T2_lS3_lPKT0_lS4_lS3_l.num_named_barrier, 0
	.set _ZN9rocsolver6v33100L16larf_left_kernelILi1024EdlPdEEvT1_S3_T2_lS3_lPKT0_lS4_lS3_l.private_seg_size, 0
	.set _ZN9rocsolver6v33100L16larf_left_kernelILi1024EdlPdEEvT1_S3_T2_lS3_lPKT0_lS4_lS3_l.uses_vcc, 1
	.set _ZN9rocsolver6v33100L16larf_left_kernelILi1024EdlPdEEvT1_S3_T2_lS3_lPKT0_lS4_lS3_l.uses_flat_scratch, 0
	.set _ZN9rocsolver6v33100L16larf_left_kernelILi1024EdlPdEEvT1_S3_T2_lS3_lPKT0_lS4_lS3_l.has_dyn_sized_stack, 0
	.set _ZN9rocsolver6v33100L16larf_left_kernelILi1024EdlPdEEvT1_S3_T2_lS3_lPKT0_lS4_lS3_l.has_recursion, 0
	.set _ZN9rocsolver6v33100L16larf_left_kernelILi1024EdlPdEEvT1_S3_T2_lS3_lPKT0_lS4_lS3_l.has_indirect_call, 0
	.section	.AMDGPU.csdata,"",@progbits
; Kernel info:
; codeLenInByte = 1704
; TotalNumSgprs: 42
; NumVgprs: 14
; ScratchSize: 0
; MemoryBound: 0
; FloatMode: 240
; IeeeMode: 1
; LDSByteSize: 0 bytes/workgroup (compile time only)
; SGPRBlocks: 0
; VGPRBlocks: 1
; NumSGPRsForWavesPerEU: 42
; NumVGPRsForWavesPerEU: 14
; Occupancy: 16
; WaveLimiterHint : 0
; COMPUTE_PGM_RSRC2:SCRATCH_EN: 0
; COMPUTE_PGM_RSRC2:USER_SGPR: 6
; COMPUTE_PGM_RSRC2:TRAP_HANDLER: 0
; COMPUTE_PGM_RSRC2:TGID_X_EN: 1
; COMPUTE_PGM_RSRC2:TGID_Y_EN: 1
; COMPUTE_PGM_RSRC2:TGID_Z_EN: 1
; COMPUTE_PGM_RSRC2:TIDIG_COMP_CNT: 0
	.section	.text._ZN9rocsolver6v33100L17larf_right_kernelILi1024EdlPdEEvT1_S3_T2_lS3_lPKT0_lS4_lS3_l,"axG",@progbits,_ZN9rocsolver6v33100L17larf_right_kernelILi1024EdlPdEEvT1_S3_T2_lS3_lPKT0_lS4_lS3_l,comdat
	.globl	_ZN9rocsolver6v33100L17larf_right_kernelILi1024EdlPdEEvT1_S3_T2_lS3_lPKT0_lS4_lS3_l ; -- Begin function _ZN9rocsolver6v33100L17larf_right_kernelILi1024EdlPdEEvT1_S3_T2_lS3_lPKT0_lS4_lS3_l
	.p2align	8
	.type	_ZN9rocsolver6v33100L17larf_right_kernelILi1024EdlPdEEvT1_S3_T2_lS3_lPKT0_lS4_lS3_l,@function
_ZN9rocsolver6v33100L17larf_right_kernelILi1024EdlPdEEvT1_S3_T2_lS3_lPKT0_lS4_lS3_l: ; @_ZN9rocsolver6v33100L17larf_right_kernelILi1024EdlPdEEvT1_S3_T2_lS3_lPKT0_lS4_lS3_l
; %bb.0:
	s_load_dwordx16 s[12:27], s[4:5], 0x8
	s_mov_b32 s2, s7
	s_waitcnt lgkmcnt(0)
	v_cmp_gt_i64_e64 s0, s[18:19], 0
	s_and_b32 vcc_lo, exec_lo, s0
	s_mov_b64 s[0:1], 0
	s_cbranch_vccnz .LBB15_2
; %bb.1:
	s_sub_u32 s0, 1, s12
	s_subb_u32 s1, 0, s13
	s_mul_hi_u32 s3, s18, s0
	s_mul_i32 s1, s18, s1
	s_mul_i32 s6, s19, s0
	s_add_i32 s1, s3, s1
	s_mul_i32 s0, s18, s0
	s_add_i32 s1, s1, s6
.LBB15_2:
	s_clause 0x1
	s_load_dwordx2 s[10:11], s[4:5], 0x58
	s_load_dwordx4 s[4:7], s[4:5], 0x48
	v_mov_b32_e32 v1, 0
	v_mov_b32_e32 v2, 0
	;; [unrolled: 1-line block ×3, first 2 shown]
	v_lshlrev_b32_e32 v8, 3, v0
	s_mov_b32 s3, 0
	v_cmp_gt_i64_e32 vcc_lo, s[12:13], v[0:1]
	s_waitcnt lgkmcnt(0)
	s_mul_i32 s9, s11, s8
	s_mul_hi_u32 s28, s10, s8
	s_mul_i32 s10, s10, s8
	s_and_saveexec_b32 s29, vcc_lo
	s_cbranch_execz .LBB15_8
; %bb.3:
	v_mad_u64_u32 v[2:3], null, s18, v0, 0
	s_mul_i32 s11, s21, s8
	s_mul_hi_u32 s21, s20, s8
	s_mul_i32 s20, s20, s8
	s_add_i32 s21, s21, s11
	s_lshl_b64 s[16:17], s[16:17], 3
	s_lshl_b64 s[0:1], s[0:1], 3
	v_mad_u64_u32 v[3:4], null, s19, v0, v[3:4]
	s_lshl_b64 s[20:21], s[20:21], 3
	s_add_u32 s11, s14, s16
	s_addc_u32 s14, s15, s17
	s_add_u32 s0, s11, s0
	v_add3_u32 v9, v8, 0, 0x100
	s_addc_u32 s1, s14, s1
	v_lshlrev_b64 v[2:3], 3, v[2:3]
	s_add_u32 s0, s0, s20
	s_addc_u32 s1, s1, s21
	v_mov_b32_e32 v5, v1
	v_mov_b32_e32 v6, v9
	;; [unrolled: 1-line block ×3, first 2 shown]
	v_add_co_u32 v2, s0, s0, v2
	v_add_co_ci_u32_e64 v3, null, s1, v3, s0
	s_lshl_b64 s[14:15], s[18:19], 13
	s_mov_b32 s11, s3
	.p2align	6
.LBB15_4:                               ; =>This Inner Loop Header: Depth=1
	global_load_dwordx2 v[10:11], v[2:3], off
	v_add_co_u32 v4, s0, 0x400, v4
	v_add_co_ci_u32_e64 v5, null, 0, v5, s0
	v_add_co_u32 v2, s0, v2, s14
	v_add_co_ci_u32_e64 v3, null, s15, v3, s0
	v_cmp_le_i64_e64 s1, s[12:13], v[4:5]
	s_or_b32 s11, s1, s11
	s_waitcnt vmcnt(0)
	ds_write_b64 v6, v[10:11]
	v_add_nc_u32_e32 v6, 0x2000, v6
	s_andn2_b32 exec_lo, exec_lo, s11
	s_cbranch_execnz .LBB15_4
; %bb.5:
	s_or_b32 exec_lo, exec_lo, s11
	v_mad_u64_u32 v[4:5], null, s6, v0, 0
	s_add_i32 s11, s28, s9
	s_lshl_b64 s[14:15], s[2:3], 3
	s_lshl_b64 s[0:1], s[4:5], 3
	;; [unrolled: 1-line block ×3, first 2 shown]
	s_add_u32 s11, s26, s14
	s_addc_u32 s14, s27, s15
	v_mov_b32_e32 v2, v5
	s_add_u32 s0, s11, s0
	s_addc_u32 s1, s14, s1
	s_add_u32 s0, s0, s16
	s_addc_u32 s1, s1, s17
	v_mad_u64_u32 v[2:3], null, s7, v0, v[2:3]
	v_mov_b32_e32 v7, v1
	v_mov_b32_e32 v6, v0
	s_lshl_b64 s[14:15], s[6:7], 13
	s_mov_b32 s11, 0
	v_mov_b32_e32 v5, v2
	v_mov_b32_e32 v2, 0
	;; [unrolled: 1-line block ×3, first 2 shown]
	v_lshlrev_b64 v[4:5], 3, v[4:5]
	v_add_co_u32 v4, s0, s0, v4
	v_add_co_ci_u32_e64 v5, null, s1, v5, s0
	.p2align	6
.LBB15_6:                               ; =>This Inner Loop Header: Depth=1
	global_load_dwordx2 v[10:11], v[4:5], off
	ds_read_b64 v[12:13], v9
	v_add_co_u32 v6, s0, 0x400, v6
	v_add_co_ci_u32_e64 v7, null, 0, v7, s0
	v_add_co_u32 v4, s1, v4, s14
	v_add_co_ci_u32_e64 v5, null, s15, v5, s1
	v_cmp_le_i64_e64 s0, s[12:13], v[6:7]
	v_add_nc_u32_e32 v9, 0x2000, v9
	s_or_b32 s11, s0, s11
	s_waitcnt vmcnt(0) lgkmcnt(0)
	v_fma_f64 v[2:3], v[10:11], v[12:13], v[2:3]
	s_andn2_b32 exec_lo, exec_lo, s11
	s_cbranch_execnz .LBB15_6
; %bb.7:
	s_or_b32 exec_lo, exec_lo, s11
.LBB15_8:
	s_or_b32 exec_lo, exec_lo, s29
	v_mbcnt_lo_u32_b32 v6, -1, 0
	s_mov_b32 s1, exec_lo
	v_cmp_ne_u32_e64 s0, 31, v6
	v_add_co_ci_u32_e64 v4, null, 0, v6, s0
	v_cmp_gt_u32_e64 s0, 30, v6
	v_lshlrev_b32_e32 v5, 2, v4
	ds_bpermute_b32 v4, v5, v2
	ds_bpermute_b32 v5, v5, v3
	s_waitcnt lgkmcnt(0)
	v_add_f64 v[2:3], v[2:3], v[4:5]
	v_cndmask_b32_e64 v4, 0, 2, s0
	v_cmp_gt_u32_e64 s0, 28, v6
	v_add_lshl_u32 v5, v4, v6, 2
	ds_bpermute_b32 v4, v5, v2
	ds_bpermute_b32 v5, v5, v3
	s_waitcnt lgkmcnt(0)
	v_add_f64 v[2:3], v[2:3], v[4:5]
	v_cndmask_b32_e64 v4, 0, 4, s0
	v_cmp_gt_u32_e64 s0, 24, v6
	v_add_lshl_u32 v5, v4, v6, 2
	ds_bpermute_b32 v4, v5, v2
	ds_bpermute_b32 v5, v5, v3
	s_waitcnt lgkmcnt(0)
	v_add_f64 v[2:3], v[2:3], v[4:5]
	v_cndmask_b32_e64 v4, 0, 8, s0
	v_add_lshl_u32 v5, v4, v6, 2
	ds_bpermute_b32 v4, v5, v2
	ds_bpermute_b32 v5, v5, v3
	s_waitcnt lgkmcnt(0)
	v_add_f64 v[2:3], v[2:3], v[4:5]
	v_lshl_or_b32 v5, v6, 2, 64
	ds_bpermute_b32 v4, v5, v2
	ds_bpermute_b32 v5, v5, v3
	s_waitcnt lgkmcnt(0)
	v_add_f64 v[2:3], v[2:3], v[4:5]
	v_and_b32_e32 v4, 31, v0
	v_cmpx_eq_u32_e32 0, v4
; %bb.9:
	v_lshrrev_b32_e32 v4, 2, v0
	v_add_nc_u32_e32 v4, 0, v4
	ds_write_b64 v4, v[2:3]
; %bb.10:
	s_or_b32 exec_lo, exec_lo, s1
	s_mov_b32 s1, exec_lo
	s_waitcnt lgkmcnt(0)
	s_barrier
	buffer_gl0_inv
	v_cmpx_eq_u32_e32 0, v0
	s_cbranch_execz .LBB15_12
; %bb.11:
	v_mov_b32_e32 v13, 0
	ds_read2_b64 v[4:7], v13 offset0:1 offset1:2
	ds_read2_b64 v[9:12], v13 offset0:3 offset1:4
	s_waitcnt lgkmcnt(1)
	v_add_f64 v[2:3], v[2:3], v[4:5]
	v_add_f64 v[2:3], v[2:3], v[6:7]
	s_waitcnt lgkmcnt(0)
	v_add_f64 v[2:3], v[2:3], v[9:10]
	v_add_f64 v[6:7], v[2:3], v[11:12]
	ds_read2_b64 v[2:5], v13 offset0:5 offset1:6
	ds_read2_b64 v[9:12], v13 offset0:7 offset1:8
	s_waitcnt lgkmcnt(1)
	v_add_f64 v[2:3], v[6:7], v[2:3]
	v_add_f64 v[2:3], v[2:3], v[4:5]
	s_waitcnt lgkmcnt(0)
	v_add_f64 v[2:3], v[2:3], v[9:10]
	v_add_f64 v[6:7], v[2:3], v[11:12]
	;; [unrolled: 8-line block ×7, first 2 shown]
	ds_read2_b64 v[2:5], v13 offset0:29 offset1:30
	ds_read_b64 v[9:10], v13 offset:248
	s_waitcnt lgkmcnt(1)
	v_add_f64 v[2:3], v[6:7], v[2:3]
	v_add_f64 v[2:3], v[2:3], v[4:5]
	s_waitcnt lgkmcnt(0)
	v_add_f64 v[2:3], v[2:3], v[9:10]
	ds_write_b64 v13, v[2:3]
.LBB15_12:
	s_or_b32 exec_lo, exec_lo, s1
	s_waitcnt lgkmcnt(0)
	s_barrier
	buffer_gl0_inv
	s_and_saveexec_b32 s0, vcc_lo
	s_cbranch_execz .LBB15_15
; %bb.13:
	s_mul_i32 s1, s25, s8
	s_mul_hi_u32 s11, s24, s8
	s_mul_i32 s0, s24, s8
	s_add_i32 s1, s11, s1
	v_mov_b32_e32 v2, 0
	s_lshl_b64 s[0:1], s[0:1], 3
	v_mad_u64_u32 v[4:5], null, s6, v0, 0
	s_add_u32 s0, s22, s0
	s_addc_u32 s1, s23, s1
	ds_read_b64 v[2:3], v2
	s_load_dwordx2 s[0:1], s[0:1], 0x0
	s_add_i32 s11, s28, s9
	s_lshl_b64 s[2:3], s[2:3], 3
	v_mad_u64_u32 v[5:6], null, s7, v0, v[5:6]
	s_lshl_b64 s[4:5], s[4:5], 3
	v_add3_u32 v6, v8, 0, 0x100
	v_lshlrev_b64 v[4:5], 3, v[4:5]
	s_waitcnt lgkmcnt(0)
	v_mul_f64 v[2:3], v[2:3], -s[0:1]
	s_lshl_b64 s[0:1], s[10:11], 3
	s_add_u32 s2, s26, s2
	s_addc_u32 s3, s27, s3
	s_add_u32 s2, s2, s4
	s_addc_u32 s3, s3, s5
	;; [unrolled: 2-line block ×3, first 2 shown]
	v_add_co_u32 v4, vcc_lo, s0, v4
	v_add_co_ci_u32_e64 v5, null, s1, v5, vcc_lo
	s_mov_b32 s1, 0
	s_lshl_b64 s[2:3], s[6:7], 13
	.p2align	6
.LBB15_14:                              ; =>This Inner Loop Header: Depth=1
	global_load_dwordx2 v[7:8], v[4:5], off
	ds_read_b64 v[9:10], v6
	v_add_co_u32 v0, vcc_lo, 0x400, v0
	v_add_co_ci_u32_e64 v1, null, 0, v1, vcc_lo
	v_add_nc_u32_e32 v6, 0x2000, v6
	v_cmp_le_i64_e32 vcc_lo, s[12:13], v[0:1]
	s_or_b32 s1, vcc_lo, s1
	s_waitcnt vmcnt(0) lgkmcnt(0)
	v_fma_f64 v[7:8], v[2:3], v[9:10], v[7:8]
	global_store_dwordx2 v[4:5], v[7:8], off
	v_add_co_u32 v4, s0, v4, s2
	v_add_co_ci_u32_e64 v5, null, s3, v5, s0
	s_andn2_b32 exec_lo, exec_lo, s1
	s_cbranch_execnz .LBB15_14
.LBB15_15:
	s_endpgm
	.section	.rodata,"a",@progbits
	.p2align	6, 0x0
	.amdhsa_kernel _ZN9rocsolver6v33100L17larf_right_kernelILi1024EdlPdEEvT1_S3_T2_lS3_lPKT0_lS4_lS3_l
		.amdhsa_group_segment_fixed_size 0
		.amdhsa_private_segment_fixed_size 0
		.amdhsa_kernarg_size 96
		.amdhsa_user_sgpr_count 6
		.amdhsa_user_sgpr_private_segment_buffer 1
		.amdhsa_user_sgpr_dispatch_ptr 0
		.amdhsa_user_sgpr_queue_ptr 0
		.amdhsa_user_sgpr_kernarg_segment_ptr 1
		.amdhsa_user_sgpr_dispatch_id 0
		.amdhsa_user_sgpr_flat_scratch_init 0
		.amdhsa_user_sgpr_private_segment_size 0
		.amdhsa_wavefront_size32 1
		.amdhsa_uses_dynamic_stack 0
		.amdhsa_system_sgpr_private_segment_wavefront_offset 0
		.amdhsa_system_sgpr_workgroup_id_x 1
		.amdhsa_system_sgpr_workgroup_id_y 1
		.amdhsa_system_sgpr_workgroup_id_z 1
		.amdhsa_system_sgpr_workgroup_info 0
		.amdhsa_system_vgpr_workitem_id 0
		.amdhsa_next_free_vgpr 14
		.amdhsa_next_free_sgpr 30
		.amdhsa_reserve_vcc 1
		.amdhsa_reserve_flat_scratch 0
		.amdhsa_float_round_mode_32 0
		.amdhsa_float_round_mode_16_64 0
		.amdhsa_float_denorm_mode_32 3
		.amdhsa_float_denorm_mode_16_64 3
		.amdhsa_dx10_clamp 1
		.amdhsa_ieee_mode 1
		.amdhsa_fp16_overflow 0
		.amdhsa_workgroup_processor_mode 1
		.amdhsa_memory_ordered 1
		.amdhsa_forward_progress 1
		.amdhsa_shared_vgpr_count 0
		.amdhsa_exception_fp_ieee_invalid_op 0
		.amdhsa_exception_fp_denorm_src 0
		.amdhsa_exception_fp_ieee_div_zero 0
		.amdhsa_exception_fp_ieee_overflow 0
		.amdhsa_exception_fp_ieee_underflow 0
		.amdhsa_exception_fp_ieee_inexact 0
		.amdhsa_exception_int_div_zero 0
	.end_amdhsa_kernel
	.section	.text._ZN9rocsolver6v33100L17larf_right_kernelILi1024EdlPdEEvT1_S3_T2_lS3_lPKT0_lS4_lS3_l,"axG",@progbits,_ZN9rocsolver6v33100L17larf_right_kernelILi1024EdlPdEEvT1_S3_T2_lS3_lPKT0_lS4_lS3_l,comdat
.Lfunc_end15:
	.size	_ZN9rocsolver6v33100L17larf_right_kernelILi1024EdlPdEEvT1_S3_T2_lS3_lPKT0_lS4_lS3_l, .Lfunc_end15-_ZN9rocsolver6v33100L17larf_right_kernelILi1024EdlPdEEvT1_S3_T2_lS3_lPKT0_lS4_lS3_l
                                        ; -- End function
	.set _ZN9rocsolver6v33100L17larf_right_kernelILi1024EdlPdEEvT1_S3_T2_lS3_lPKT0_lS4_lS3_l.num_vgpr, 14
	.set _ZN9rocsolver6v33100L17larf_right_kernelILi1024EdlPdEEvT1_S3_T2_lS3_lPKT0_lS4_lS3_l.num_agpr, 0
	.set _ZN9rocsolver6v33100L17larf_right_kernelILi1024EdlPdEEvT1_S3_T2_lS3_lPKT0_lS4_lS3_l.numbered_sgpr, 30
	.set _ZN9rocsolver6v33100L17larf_right_kernelILi1024EdlPdEEvT1_S3_T2_lS3_lPKT0_lS4_lS3_l.num_named_barrier, 0
	.set _ZN9rocsolver6v33100L17larf_right_kernelILi1024EdlPdEEvT1_S3_T2_lS3_lPKT0_lS4_lS3_l.private_seg_size, 0
	.set _ZN9rocsolver6v33100L17larf_right_kernelILi1024EdlPdEEvT1_S3_T2_lS3_lPKT0_lS4_lS3_l.uses_vcc, 1
	.set _ZN9rocsolver6v33100L17larf_right_kernelILi1024EdlPdEEvT1_S3_T2_lS3_lPKT0_lS4_lS3_l.uses_flat_scratch, 0
	.set _ZN9rocsolver6v33100L17larf_right_kernelILi1024EdlPdEEvT1_S3_T2_lS3_lPKT0_lS4_lS3_l.has_dyn_sized_stack, 0
	.set _ZN9rocsolver6v33100L17larf_right_kernelILi1024EdlPdEEvT1_S3_T2_lS3_lPKT0_lS4_lS3_l.has_recursion, 0
	.set _ZN9rocsolver6v33100L17larf_right_kernelILi1024EdlPdEEvT1_S3_T2_lS3_lPKT0_lS4_lS3_l.has_indirect_call, 0
	.section	.AMDGPU.csdata,"",@progbits
; Kernel info:
; codeLenInByte = 1764
; TotalNumSgprs: 32
; NumVgprs: 14
; ScratchSize: 0
; MemoryBound: 0
; FloatMode: 240
; IeeeMode: 1
; LDSByteSize: 0 bytes/workgroup (compile time only)
; SGPRBlocks: 0
; VGPRBlocks: 1
; NumSGPRsForWavesPerEU: 32
; NumVGPRsForWavesPerEU: 14
; Occupancy: 16
; WaveLimiterHint : 0
; COMPUTE_PGM_RSRC2:SCRATCH_EN: 0
; COMPUTE_PGM_RSRC2:USER_SGPR: 6
; COMPUTE_PGM_RSRC2:TRAP_HANDLER: 0
; COMPUTE_PGM_RSRC2:TGID_X_EN: 1
; COMPUTE_PGM_RSRC2:TGID_Y_EN: 1
; COMPUTE_PGM_RSRC2:TGID_Z_EN: 1
; COMPUTE_PGM_RSRC2:TIDIG_COMP_CNT: 0
	.section	.text._ZN9rocsolver6v33100L16larf_left_kernelILi1024E19rocblas_complex_numIfElPS3_EEvT1_S5_T2_lS5_lPKT0_lS6_lS5_l,"axG",@progbits,_ZN9rocsolver6v33100L16larf_left_kernelILi1024E19rocblas_complex_numIfElPS3_EEvT1_S5_T2_lS5_lPKT0_lS6_lS5_l,comdat
	.globl	_ZN9rocsolver6v33100L16larf_left_kernelILi1024E19rocblas_complex_numIfElPS3_EEvT1_S5_T2_lS5_lPKT0_lS6_lS5_l ; -- Begin function _ZN9rocsolver6v33100L16larf_left_kernelILi1024E19rocblas_complex_numIfElPS3_EEvT1_S5_T2_lS5_lPKT0_lS6_lS5_l
	.p2align	8
	.type	_ZN9rocsolver6v33100L16larf_left_kernelILi1024E19rocblas_complex_numIfElPS3_EEvT1_S5_T2_lS5_lPKT0_lS6_lS5_l,@function
_ZN9rocsolver6v33100L16larf_left_kernelILi1024E19rocblas_complex_numIfElPS3_EEvT1_S5_T2_lS5_lPKT0_lS6_lS5_l: ; @_ZN9rocsolver6v33100L16larf_left_kernelILi1024E19rocblas_complex_numIfElPS3_EEvT1_S5_T2_lS5_lPKT0_lS6_lS5_l
; %bb.0:
	s_clause 0x1
	s_load_dwordx16 s[12:27], s[4:5], 0x10
	s_load_dwordx2 s[2:3], s[4:5], 0x0
	s_waitcnt lgkmcnt(0)
	v_cmp_gt_i64_e64 s0, s[16:17], 0
	s_and_b32 vcc_lo, exec_lo, s0
	s_mov_b64 s[0:1], 0
	s_cbranch_vccnz .LBB16_2
; %bb.1:
	s_sub_u32 s0, 1, s2
	s_subb_u32 s1, 0, s3
	s_mul_hi_u32 s6, s16, s0
	s_mul_i32 s1, s16, s1
	s_mul_i32 s9, s17, s0
	s_add_i32 s1, s6, s1
	s_mul_i32 s0, s16, s0
	s_add_i32 s1, s1, s9
.LBB16_2:
	s_load_dwordx4 s[36:39], s[4:5], 0x50
	v_mov_b32_e32 v1, 0
	v_lshlrev_b32_e32 v6, 3, v0
	s_mov_b32 s5, 0
	v_cmp_gt_i64_e32 vcc_lo, s[2:3], v[0:1]
	v_mov_b32_e32 v8, v1
	v_mov_b32_e32 v9, v1
	s_waitcnt lgkmcnt(0)
	s_mul_i32 s28, s39, s8
	s_mul_hi_u32 s30, s38, s8
	s_mul_i32 s4, s38, s8
	s_mul_i32 s9, s37, s7
	s_mul_hi_u32 s29, s36, s7
	s_mul_i32 s6, s36, s7
	s_and_saveexec_b32 s31, vcc_lo
	s_cbranch_execz .LBB16_8
; %bb.3:
	v_mad_u64_u32 v[2:3], null, s16, v0, 0
	s_mul_i32 s7, s19, s8
	s_mul_hi_u32 s11, s18, s8
	s_mul_i32 s10, s18, s8
	s_add_i32 s11, s11, s7
	s_lshl_b64 s[14:15], s[14:15], 3
	s_lshl_b64 s[0:1], s[0:1], 3
	v_mad_u64_u32 v[3:4], null, s17, v0, v[3:4]
	s_lshl_b64 s[10:11], s[10:11], 3
	s_add_u32 s7, s12, s14
	s_addc_u32 s12, s13, s15
	s_add_u32 s0, s7, s0
	v_add3_u32 v7, v6, 0, 0x100
	s_addc_u32 s1, s12, s1
	v_lshlrev_b64 v[2:3], 3, v[2:3]
	s_add_u32 s0, s0, s10
	s_addc_u32 s1, s1, s11
	v_mov_b32_e32 v5, v1
	v_mov_b32_e32 v8, v7
	v_mov_b32_e32 v4, v0
	v_add_co_u32 v2, s0, s0, v2
	v_add_co_ci_u32_e64 v3, null, s1, v3, s0
	s_lshl_b64 s[10:11], s[16:17], 13
	.p2align	6
.LBB16_4:                               ; =>This Inner Loop Header: Depth=1
	global_load_dwordx2 v[9:10], v[2:3], off
	v_add_co_u32 v4, s0, 0x400, v4
	v_add_co_ci_u32_e64 v5, null, 0, v5, s0
	v_add_co_u32 v2, s0, v2, s10
	v_add_co_ci_u32_e64 v3, null, s11, v3, s0
	v_cmp_le_i64_e64 s1, s[2:3], v[4:5]
	s_or_b32 s5, s1, s5
	s_waitcnt vmcnt(0)
	ds_write_b64 v8, v[9:10]
	v_add_nc_u32_e32 v8, 0x2000, v8
	s_andn2_b32 exec_lo, exec_lo, s5
	s_cbranch_execnz .LBB16_4
; %bb.5:
	s_or_b32 exec_lo, exec_lo, s5
	s_add_i32 s5, s30, s28
	s_add_i32 s7, s29, s9
	s_lshl_b64 s[0:1], s[4:5], 3
	s_lshl_b64 s[10:11], s[6:7], 3
	v_mov_b32_e32 v5, v1
	s_add_u32 s5, s0, s10
	s_addc_u32 s7, s1, s11
	s_lshl_b64 s[0:1], s[26:27], 3
	v_mov_b32_e32 v8, 0
	s_add_u32 s0, s5, s0
	s_addc_u32 s1, s7, s1
	s_add_u32 s0, s24, s0
	s_addc_u32 s1, s25, s1
	v_add_co_u32 v2, s0, s0, v6
	v_add_co_ci_u32_e64 v3, null, s1, 0, s0
	v_mov_b32_e32 v4, v0
	v_add_co_u32 v2, s0, v2, 4
	v_add_co_ci_u32_e64 v3, null, 0, v3, s0
	v_mov_b32_e32 v9, 0
	s_mov_b32 s5, 0
	.p2align	6
.LBB16_6:                               ; =>This Inner Loop Header: Depth=1
	global_load_dwordx2 v[10:11], v[2:3], off offset:-4
	ds_read_b64 v[12:13], v7
	v_add_co_u32 v4, s0, 0x400, v4
	v_add_co_ci_u32_e64 v5, null, 0, v5, s0
	v_add_co_u32 v2, s0, 0x2000, v2
	v_add_co_ci_u32_e64 v3, null, 0, v3, s0
	v_cmp_le_i64_e64 s1, s[2:3], v[4:5]
	v_add_nc_u32_e32 v7, 0x2000, v7
	s_or_b32 s5, s1, s5
	s_waitcnt vmcnt(0) lgkmcnt(0)
	v_mul_f32_e32 v14, v11, v13
	v_mul_f32_e32 v11, v11, v12
	v_fmac_f32_e32 v14, v10, v12
	v_fma_f32 v10, v10, v13, -v11
	v_add_f32_e32 v9, v9, v14
	v_add_f32_e32 v8, v8, v10
	s_andn2_b32 exec_lo, exec_lo, s5
	s_cbranch_execnz .LBB16_6
; %bb.7:
	s_or_b32 exec_lo, exec_lo, s5
.LBB16_8:
	s_or_b32 exec_lo, exec_lo, s31
	v_mbcnt_lo_u32_b32 v2, -1, 0
	s_mov_b32 s1, exec_lo
	v_cmp_ne_u32_e64 s0, 31, v2
	v_add_co_ci_u32_e64 v3, null, 0, v2, s0
	v_cmp_gt_u32_e64 s0, 30, v2
	v_lshlrev_b32_e32 v3, 2, v3
	v_cndmask_b32_e64 v5, 0, 2, s0
	v_cmp_gt_u32_e64 s0, 28, v2
	ds_bpermute_b32 v4, v3, v9
	ds_bpermute_b32 v3, v3, v8
	v_add_lshl_u32 v5, v5, v2, 2
	s_waitcnt lgkmcnt(1)
	v_add_f32_e32 v4, v9, v4
	s_waitcnt lgkmcnt(0)
	v_add_f32_e32 v3, v8, v3
	v_cndmask_b32_e64 v8, 0, 4, s0
	v_cmp_gt_u32_e64 s0, 24, v2
	ds_bpermute_b32 v7, v5, v4
	ds_bpermute_b32 v5, v5, v3
	v_add_lshl_u32 v8, v8, v2, 2
	s_waitcnt lgkmcnt(1)
	v_add_f32_e32 v4, v4, v7
	s_waitcnt lgkmcnt(0)
	v_add_f32_e32 v3, v3, v5
	ds_bpermute_b32 v5, v8, v4
	ds_bpermute_b32 v7, v8, v3
	v_cndmask_b32_e64 v8, 0, 8, s0
	v_add_lshl_u32 v8, v8, v2, 2
	v_lshl_or_b32 v2, v2, 2, 64
	s_waitcnt lgkmcnt(1)
	v_add_f32_e32 v4, v4, v5
	s_waitcnt lgkmcnt(0)
	v_add_f32_e32 v3, v3, v7
	ds_bpermute_b32 v5, v8, v4
	ds_bpermute_b32 v7, v8, v3
	v_and_b32_e32 v8, 31, v0
	s_waitcnt lgkmcnt(1)
	v_add_f32_e32 v4, v4, v5
	s_waitcnt lgkmcnt(0)
	v_add_f32_e32 v3, v3, v7
	ds_bpermute_b32 v5, v2, v4
	ds_bpermute_b32 v7, v2, v3
	s_waitcnt lgkmcnt(1)
	v_add_f32_e32 v2, v4, v5
	s_waitcnt lgkmcnt(0)
	v_add_f32_e32 v3, v3, v7
	v_cmpx_eq_u32_e32 0, v8
; %bb.9:
	v_lshrrev_b32_e32 v4, 2, v0
	v_add_nc_u32_e32 v4, 0, v4
	ds_write2_b32 v4, v2, v3 offset1:1
; %bb.10:
	s_or_b32 exec_lo, exec_lo, s1
	s_mov_b32 s1, exec_lo
	s_waitcnt lgkmcnt(0)
	s_barrier
	buffer_gl0_inv
	v_cmpx_eq_u32_e32 0, v0
	s_cbranch_execz .LBB16_12
; %bb.11:
	v_mov_b32_e32 v19, 0
	ds_read2_b64 v[7:10], v19 offset0:1 offset1:2
	ds_read2_b64 v[11:14], v19 offset0:3 offset1:4
	ds_read2_b64 v[15:18], v19 offset0:5 offset1:6
	s_waitcnt lgkmcnt(2)
	v_add_f32_e32 v2, v2, v7
	v_add_f32_e32 v3, v3, v8
	v_add_f32_e32 v7, v2, v9
	v_add_f32_e32 v8, v3, v10
	ds_read2_b64 v[2:5], v19 offset0:7 offset1:8
	s_waitcnt lgkmcnt(2)
	v_add_f32_e32 v7, v7, v11
	v_add_f32_e32 v8, v8, v12
	v_add_f32_e32 v11, v7, v13
	v_add_f32_e32 v12, v8, v14
	ds_read2_b64 v[7:10], v19 offset0:9 offset1:10
	;; [unrolled: 6-line block ×12, first 2 shown]
	s_waitcnt lgkmcnt(2)
	v_add_f32_e32 v2, v15, v2
	v_add_f32_e32 v3, v16, v3
	;; [unrolled: 1-line block ×4, first 2 shown]
	ds_read_b64 v[2:3], v19 offset:248
	s_waitcnt lgkmcnt(2)
	v_add_f32_e32 v4, v4, v7
	v_add_f32_e32 v5, v5, v8
	v_add_f32_e32 v4, v4, v9
	v_add_f32_e32 v5, v5, v10
	s_waitcnt lgkmcnt(1)
	v_add_f32_e32 v4, v4, v11
	v_add_f32_e32 v5, v5, v12
	;; [unrolled: 1-line block ×4, first 2 shown]
	s_waitcnt lgkmcnt(0)
	v_add_f32_e32 v2, v4, v2
	v_add_f32_e32 v3, v5, v3
	ds_write_b64 v19, v[2:3]
.LBB16_12:
	s_or_b32 exec_lo, exec_lo, s1
	s_waitcnt lgkmcnt(0)
	s_barrier
	buffer_gl0_inv
	s_and_saveexec_b32 s0, vcc_lo
	s_cbranch_execz .LBB16_15
; %bb.13:
	s_mul_i32 s0, s23, s8
	s_mul_hi_u32 s1, s22, s8
	v_mov_b32_e32 v2, 0
	s_add_i32 s1, s1, s0
	s_mul_i32 s0, s22, s8
	s_lshl_b64 s[0:1], s[0:1], 3
	ds_read_b64 v[4:5], v2
	s_add_u32 s0, s20, s0
	s_addc_u32 s1, s21, s1
	s_add_i32 s5, s30, s28
	s_load_dwordx2 s[0:1], s[0:1], 0x0
	s_add_i32 s7, s29, s9
	s_lshl_b64 s[4:5], s[4:5], 3
	s_lshl_b64 s[6:7], s[6:7], 3
	s_add_u32 s6, s4, s6
	s_addc_u32 s7, s5, s7
	s_lshl_b64 s[4:5], s[26:27], 3
	s_add_u32 s4, s6, s4
	s_addc_u32 s5, s7, s5
	s_add_u32 s4, s24, s4
	s_addc_u32 s5, s25, s5
	v_add_co_u32 v2, s4, s4, v6
	v_add_co_ci_u32_e64 v3, null, s5, 0, s4
	v_add3_u32 v6, v6, 0, 0x100
	v_add_co_u32 v2, vcc_lo, v2, 4
	s_waitcnt lgkmcnt(0)
	v_mul_f32_e32 v7, s1, v5
	v_mul_f32_e32 v8, s1, v4
	v_add_co_ci_u32_e64 v3, null, 0, v3, vcc_lo
	s_mov_b32 s1, 0
	v_fma_f32 v4, v4, -s0, -v7
	v_fma_f32 v5, s0, v5, -v8
	.p2align	6
.LBB16_14:                              ; =>This Inner Loop Header: Depth=1
	global_load_dwordx2 v[7:8], v[2:3], off offset:-4
	ds_read_b64 v[9:10], v6
	v_add_co_u32 v0, vcc_lo, 0x400, v0
	v_add_co_ci_u32_e64 v1, null, 0, v1, vcc_lo
	v_add_nc_u32_e32 v6, 0x2000, v6
	v_cmp_le_i64_e32 vcc_lo, s[2:3], v[0:1]
	s_or_b32 s1, vcc_lo, s1
	s_waitcnt lgkmcnt(0)
	v_mul_f32_e32 v11, v5, v10
	v_mul_f32_e32 v10, v4, v10
	v_fma_f32 v11, v4, v9, -v11
	v_fmac_f32_e32 v10, v5, v9
	s_waitcnt vmcnt(0)
	v_add_f32_e32 v7, v7, v11
	v_add_f32_e32 v8, v10, v8
	global_store_dwordx2 v[2:3], v[7:8], off offset:-4
	v_add_co_u32 v2, s0, 0x2000, v2
	v_add_co_ci_u32_e64 v3, null, 0, v3, s0
	s_andn2_b32 exec_lo, exec_lo, s1
	s_cbranch_execnz .LBB16_14
.LBB16_15:
	s_endpgm
	.section	.rodata,"a",@progbits
	.p2align	6, 0x0
	.amdhsa_kernel _ZN9rocsolver6v33100L16larf_left_kernelILi1024E19rocblas_complex_numIfElPS3_EEvT1_S5_T2_lS5_lPKT0_lS6_lS5_l
		.amdhsa_group_segment_fixed_size 0
		.amdhsa_private_segment_fixed_size 0
		.amdhsa_kernarg_size 96
		.amdhsa_user_sgpr_count 6
		.amdhsa_user_sgpr_private_segment_buffer 1
		.amdhsa_user_sgpr_dispatch_ptr 0
		.amdhsa_user_sgpr_queue_ptr 0
		.amdhsa_user_sgpr_kernarg_segment_ptr 1
		.amdhsa_user_sgpr_dispatch_id 0
		.amdhsa_user_sgpr_flat_scratch_init 0
		.amdhsa_user_sgpr_private_segment_size 0
		.amdhsa_wavefront_size32 1
		.amdhsa_uses_dynamic_stack 0
		.amdhsa_system_sgpr_private_segment_wavefront_offset 0
		.amdhsa_system_sgpr_workgroup_id_x 1
		.amdhsa_system_sgpr_workgroup_id_y 1
		.amdhsa_system_sgpr_workgroup_id_z 1
		.amdhsa_system_sgpr_workgroup_info 0
		.amdhsa_system_vgpr_workitem_id 0
		.amdhsa_next_free_vgpr 20
		.amdhsa_next_free_sgpr 40
		.amdhsa_reserve_vcc 1
		.amdhsa_reserve_flat_scratch 0
		.amdhsa_float_round_mode_32 0
		.amdhsa_float_round_mode_16_64 0
		.amdhsa_float_denorm_mode_32 3
		.amdhsa_float_denorm_mode_16_64 3
		.amdhsa_dx10_clamp 1
		.amdhsa_ieee_mode 1
		.amdhsa_fp16_overflow 0
		.amdhsa_workgroup_processor_mode 1
		.amdhsa_memory_ordered 1
		.amdhsa_forward_progress 1
		.amdhsa_shared_vgpr_count 0
		.amdhsa_exception_fp_ieee_invalid_op 0
		.amdhsa_exception_fp_denorm_src 0
		.amdhsa_exception_fp_ieee_div_zero 0
		.amdhsa_exception_fp_ieee_overflow 0
		.amdhsa_exception_fp_ieee_underflow 0
		.amdhsa_exception_fp_ieee_inexact 0
		.amdhsa_exception_int_div_zero 0
	.end_amdhsa_kernel
	.section	.text._ZN9rocsolver6v33100L16larf_left_kernelILi1024E19rocblas_complex_numIfElPS3_EEvT1_S5_T2_lS5_lPKT0_lS6_lS5_l,"axG",@progbits,_ZN9rocsolver6v33100L16larf_left_kernelILi1024E19rocblas_complex_numIfElPS3_EEvT1_S5_T2_lS5_lPKT0_lS6_lS5_l,comdat
.Lfunc_end16:
	.size	_ZN9rocsolver6v33100L16larf_left_kernelILi1024E19rocblas_complex_numIfElPS3_EEvT1_S5_T2_lS5_lPKT0_lS6_lS5_l, .Lfunc_end16-_ZN9rocsolver6v33100L16larf_left_kernelILi1024E19rocblas_complex_numIfElPS3_EEvT1_S5_T2_lS5_lPKT0_lS6_lS5_l
                                        ; -- End function
	.set _ZN9rocsolver6v33100L16larf_left_kernelILi1024E19rocblas_complex_numIfElPS3_EEvT1_S5_T2_lS5_lPKT0_lS6_lS5_l.num_vgpr, 20
	.set _ZN9rocsolver6v33100L16larf_left_kernelILi1024E19rocblas_complex_numIfElPS3_EEvT1_S5_T2_lS5_lPKT0_lS6_lS5_l.num_agpr, 0
	.set _ZN9rocsolver6v33100L16larf_left_kernelILi1024E19rocblas_complex_numIfElPS3_EEvT1_S5_T2_lS5_lPKT0_lS6_lS5_l.numbered_sgpr, 40
	.set _ZN9rocsolver6v33100L16larf_left_kernelILi1024E19rocblas_complex_numIfElPS3_EEvT1_S5_T2_lS5_lPKT0_lS6_lS5_l.num_named_barrier, 0
	.set _ZN9rocsolver6v33100L16larf_left_kernelILi1024E19rocblas_complex_numIfElPS3_EEvT1_S5_T2_lS5_lPKT0_lS6_lS5_l.private_seg_size, 0
	.set _ZN9rocsolver6v33100L16larf_left_kernelILi1024E19rocblas_complex_numIfElPS3_EEvT1_S5_T2_lS5_lPKT0_lS6_lS5_l.uses_vcc, 1
	.set _ZN9rocsolver6v33100L16larf_left_kernelILi1024E19rocblas_complex_numIfElPS3_EEvT1_S5_T2_lS5_lPKT0_lS6_lS5_l.uses_flat_scratch, 0
	.set _ZN9rocsolver6v33100L16larf_left_kernelILi1024E19rocblas_complex_numIfElPS3_EEvT1_S5_T2_lS5_lPKT0_lS6_lS5_l.has_dyn_sized_stack, 0
	.set _ZN9rocsolver6v33100L16larf_left_kernelILi1024E19rocblas_complex_numIfElPS3_EEvT1_S5_T2_lS5_lPKT0_lS6_lS5_l.has_recursion, 0
	.set _ZN9rocsolver6v33100L16larf_left_kernelILi1024E19rocblas_complex_numIfElPS3_EEvT1_S5_T2_lS5_lPKT0_lS6_lS5_l.has_indirect_call, 0
	.section	.AMDGPU.csdata,"",@progbits
; Kernel info:
; codeLenInByte = 1792
; TotalNumSgprs: 42
; NumVgprs: 20
; ScratchSize: 0
; MemoryBound: 0
; FloatMode: 240
; IeeeMode: 1
; LDSByteSize: 0 bytes/workgroup (compile time only)
; SGPRBlocks: 0
; VGPRBlocks: 2
; NumSGPRsForWavesPerEU: 42
; NumVGPRsForWavesPerEU: 20
; Occupancy: 16
; WaveLimiterHint : 0
; COMPUTE_PGM_RSRC2:SCRATCH_EN: 0
; COMPUTE_PGM_RSRC2:USER_SGPR: 6
; COMPUTE_PGM_RSRC2:TRAP_HANDLER: 0
; COMPUTE_PGM_RSRC2:TGID_X_EN: 1
; COMPUTE_PGM_RSRC2:TGID_Y_EN: 1
; COMPUTE_PGM_RSRC2:TGID_Z_EN: 1
; COMPUTE_PGM_RSRC2:TIDIG_COMP_CNT: 0
	.section	.text._ZN9rocsolver6v33100L17larf_right_kernelILi1024E19rocblas_complex_numIfElPS3_EEvT1_S5_T2_lS5_lPKT0_lS6_lS5_l,"axG",@progbits,_ZN9rocsolver6v33100L17larf_right_kernelILi1024E19rocblas_complex_numIfElPS3_EEvT1_S5_T2_lS5_lPKT0_lS6_lS5_l,comdat
	.globl	_ZN9rocsolver6v33100L17larf_right_kernelILi1024E19rocblas_complex_numIfElPS3_EEvT1_S5_T2_lS5_lPKT0_lS6_lS5_l ; -- Begin function _ZN9rocsolver6v33100L17larf_right_kernelILi1024E19rocblas_complex_numIfElPS3_EEvT1_S5_T2_lS5_lPKT0_lS6_lS5_l
	.p2align	8
	.type	_ZN9rocsolver6v33100L17larf_right_kernelILi1024E19rocblas_complex_numIfElPS3_EEvT1_S5_T2_lS5_lPKT0_lS6_lS5_l,@function
_ZN9rocsolver6v33100L17larf_right_kernelILi1024E19rocblas_complex_numIfElPS3_EEvT1_S5_T2_lS5_lPKT0_lS6_lS5_l: ; @_ZN9rocsolver6v33100L17larf_right_kernelILi1024E19rocblas_complex_numIfElPS3_EEvT1_S5_T2_lS5_lPKT0_lS6_lS5_l
; %bb.0:
	s_load_dwordx16 s[12:27], s[4:5], 0x8
	s_mov_b32 s2, s7
	s_waitcnt lgkmcnt(0)
	v_cmp_gt_i64_e64 s0, s[18:19], 0
	s_and_b32 vcc_lo, exec_lo, s0
	s_mov_b64 s[0:1], 0
	s_cbranch_vccnz .LBB17_2
; %bb.1:
	s_sub_u32 s0, 1, s12
	s_subb_u32 s1, 0, s13
	s_mul_hi_u32 s3, s18, s0
	s_mul_i32 s1, s18, s1
	s_mul_i32 s6, s19, s0
	s_add_i32 s1, s3, s1
	s_mul_i32 s0, s18, s0
	s_add_i32 s1, s1, s6
.LBB17_2:
	s_clause 0x1
	s_load_dwordx2 s[10:11], s[4:5], 0x58
	s_load_dwordx4 s[4:7], s[4:5], 0x48
	v_mov_b32_e32 v1, 0
	v_lshlrev_b32_e32 v6, 3, v0
	s_mov_b32 s3, 0
	v_cmp_gt_i64_e32 vcc_lo, s[12:13], v[0:1]
	v_mov_b32_e32 v8, v1
	v_mov_b32_e32 v9, v1
	s_waitcnt lgkmcnt(0)
	s_mul_i32 s9, s11, s8
	s_mul_hi_u32 s28, s10, s8
	s_mul_i32 s10, s10, s8
	s_and_saveexec_b32 s29, vcc_lo
	s_cbranch_execz .LBB17_8
; %bb.3:
	v_mad_u64_u32 v[2:3], null, s18, v0, 0
	s_mul_i32 s11, s21, s8
	s_mul_hi_u32 s21, s20, s8
	s_mul_i32 s20, s20, s8
	s_add_i32 s21, s21, s11
	s_lshl_b64 s[16:17], s[16:17], 3
	s_lshl_b64 s[0:1], s[0:1], 3
	v_mad_u64_u32 v[3:4], null, s19, v0, v[3:4]
	s_lshl_b64 s[20:21], s[20:21], 3
	s_add_u32 s11, s14, s16
	s_addc_u32 s14, s15, s17
	s_add_u32 s0, s11, s0
	v_add3_u32 v7, v6, 0, 0x100
	s_addc_u32 s1, s14, s1
	v_lshlrev_b64 v[2:3], 3, v[2:3]
	s_add_u32 s0, s0, s20
	s_addc_u32 s1, s1, s21
	v_mov_b32_e32 v5, v1
	v_mov_b32_e32 v8, v7
	;; [unrolled: 1-line block ×3, first 2 shown]
	v_add_co_u32 v2, s0, s0, v2
	v_add_co_ci_u32_e64 v3, null, s1, v3, s0
	s_lshl_b64 s[14:15], s[18:19], 13
	s_mov_b32 s11, s3
	.p2align	6
.LBB17_4:                               ; =>This Inner Loop Header: Depth=1
	global_load_dwordx2 v[9:10], v[2:3], off
	v_add_co_u32 v4, s0, 0x400, v4
	v_add_co_ci_u32_e64 v5, null, 0, v5, s0
	v_add_co_u32 v2, s0, v2, s14
	v_add_co_ci_u32_e64 v3, null, s15, v3, s0
	v_cmp_le_i64_e64 s1, s[12:13], v[4:5]
	s_or_b32 s11, s1, s11
	s_waitcnt vmcnt(0)
	ds_write_b64 v8, v[9:10]
	v_add_nc_u32_e32 v8, 0x2000, v8
	s_andn2_b32 exec_lo, exec_lo, s11
	s_cbranch_execnz .LBB17_4
; %bb.5:
	s_or_b32 exec_lo, exec_lo, s11
	v_mad_u64_u32 v[4:5], null, s6, v0, 0
	s_add_i32 s11, s28, s9
	s_lshl_b64 s[14:15], s[2:3], 3
	s_lshl_b64 s[0:1], s[4:5], 3
	;; [unrolled: 1-line block ×3, first 2 shown]
	s_add_u32 s11, s26, s14
	s_addc_u32 s14, s27, s15
	v_mov_b32_e32 v2, v5
	s_add_u32 s0, s11, s0
	s_addc_u32 s1, s14, s1
	s_add_u32 s0, s0, s16
	s_addc_u32 s1, s1, s17
	v_mad_u64_u32 v[2:3], null, s7, v0, v[2:3]
	v_mov_b32_e32 v8, 0
	v_mov_b32_e32 v9, 0
	s_lshl_b64 s[14:15], s[6:7], 13
	s_mov_b32 s11, 0
	v_mov_b32_e32 v5, v2
	v_mov_b32_e32 v3, v1
	;; [unrolled: 1-line block ×3, first 2 shown]
	v_lshlrev_b64 v[4:5], 3, v[4:5]
	v_add_co_u32 v4, s0, s0, v4
	v_add_co_ci_u32_e64 v5, null, s1, v5, s0
	.p2align	6
.LBB17_6:                               ; =>This Inner Loop Header: Depth=1
	global_load_dwordx2 v[10:11], v[4:5], off
	ds_read_b64 v[12:13], v7
	v_add_co_u32 v2, s0, 0x400, v2
	v_add_co_ci_u32_e64 v3, null, 0, v3, s0
	v_add_co_u32 v4, s0, v4, s14
	v_add_co_ci_u32_e64 v5, null, s15, v5, s0
	v_cmp_le_i64_e64 s1, s[12:13], v[2:3]
	v_add_nc_u32_e32 v7, 0x2000, v7
	s_or_b32 s11, s1, s11
	s_waitcnt vmcnt(0) lgkmcnt(0)
	v_mul_f32_e32 v14, v13, v11
	v_mul_f32_e32 v11, v12, v11
	v_fma_f32 v12, v12, v10, -v14
	v_fmac_f32_e32 v11, v13, v10
	v_add_f32_e32 v9, v9, v12
	v_add_f32_e32 v8, v8, v11
	s_andn2_b32 exec_lo, exec_lo, s11
	s_cbranch_execnz .LBB17_6
; %bb.7:
	s_or_b32 exec_lo, exec_lo, s11
.LBB17_8:
	s_or_b32 exec_lo, exec_lo, s29
	v_mbcnt_lo_u32_b32 v2, -1, 0
	s_mov_b32 s1, exec_lo
	v_cmp_ne_u32_e64 s0, 31, v2
	v_add_co_ci_u32_e64 v3, null, 0, v2, s0
	v_cmp_gt_u32_e64 s0, 30, v2
	v_lshlrev_b32_e32 v3, 2, v3
	v_cndmask_b32_e64 v5, 0, 2, s0
	v_cmp_gt_u32_e64 s0, 28, v2
	ds_bpermute_b32 v4, v3, v9
	ds_bpermute_b32 v3, v3, v8
	v_add_lshl_u32 v5, v5, v2, 2
	s_waitcnt lgkmcnt(1)
	v_add_f32_e32 v4, v9, v4
	s_waitcnt lgkmcnt(0)
	v_add_f32_e32 v3, v8, v3
	v_cndmask_b32_e64 v8, 0, 4, s0
	v_cmp_gt_u32_e64 s0, 24, v2
	ds_bpermute_b32 v7, v5, v4
	ds_bpermute_b32 v5, v5, v3
	v_add_lshl_u32 v8, v8, v2, 2
	s_waitcnt lgkmcnt(1)
	v_add_f32_e32 v4, v4, v7
	s_waitcnt lgkmcnt(0)
	v_add_f32_e32 v3, v3, v5
	ds_bpermute_b32 v5, v8, v4
	ds_bpermute_b32 v7, v8, v3
	v_cndmask_b32_e64 v8, 0, 8, s0
	v_add_lshl_u32 v8, v8, v2, 2
	v_lshl_or_b32 v2, v2, 2, 64
	s_waitcnt lgkmcnt(1)
	v_add_f32_e32 v4, v4, v5
	s_waitcnt lgkmcnt(0)
	v_add_f32_e32 v3, v3, v7
	ds_bpermute_b32 v5, v8, v4
	ds_bpermute_b32 v7, v8, v3
	v_and_b32_e32 v8, 31, v0
	s_waitcnt lgkmcnt(1)
	v_add_f32_e32 v4, v4, v5
	s_waitcnt lgkmcnt(0)
	v_add_f32_e32 v3, v3, v7
	ds_bpermute_b32 v5, v2, v4
	ds_bpermute_b32 v7, v2, v3
	s_waitcnt lgkmcnt(1)
	v_add_f32_e32 v2, v4, v5
	s_waitcnt lgkmcnt(0)
	v_add_f32_e32 v3, v3, v7
	v_cmpx_eq_u32_e32 0, v8
; %bb.9:
	v_lshrrev_b32_e32 v4, 2, v0
	v_add_nc_u32_e32 v4, 0, v4
	ds_write2_b32 v4, v2, v3 offset1:1
; %bb.10:
	s_or_b32 exec_lo, exec_lo, s1
	s_mov_b32 s1, exec_lo
	s_waitcnt lgkmcnt(0)
	s_barrier
	buffer_gl0_inv
	v_cmpx_eq_u32_e32 0, v0
	s_cbranch_execz .LBB17_12
; %bb.11:
	v_mov_b32_e32 v19, 0
	ds_read2_b64 v[7:10], v19 offset0:1 offset1:2
	ds_read2_b64 v[11:14], v19 offset0:3 offset1:4
	;; [unrolled: 1-line block ×3, first 2 shown]
	s_waitcnt lgkmcnt(2)
	v_add_f32_e32 v2, v2, v7
	v_add_f32_e32 v3, v3, v8
	v_add_f32_e32 v7, v2, v9
	v_add_f32_e32 v8, v3, v10
	ds_read2_b64 v[2:5], v19 offset0:7 offset1:8
	s_waitcnt lgkmcnt(2)
	v_add_f32_e32 v7, v7, v11
	v_add_f32_e32 v8, v8, v12
	v_add_f32_e32 v11, v7, v13
	v_add_f32_e32 v12, v8, v14
	ds_read2_b64 v[7:10], v19 offset0:9 offset1:10
	;; [unrolled: 6-line block ×12, first 2 shown]
	s_waitcnt lgkmcnt(2)
	v_add_f32_e32 v2, v15, v2
	v_add_f32_e32 v3, v16, v3
	v_add_f32_e32 v4, v2, v4
	v_add_f32_e32 v5, v3, v5
	ds_read_b64 v[2:3], v19 offset:248
	s_waitcnt lgkmcnt(2)
	v_add_f32_e32 v4, v4, v7
	v_add_f32_e32 v5, v5, v8
	;; [unrolled: 1-line block ×4, first 2 shown]
	s_waitcnt lgkmcnt(1)
	v_add_f32_e32 v4, v4, v11
	v_add_f32_e32 v5, v5, v12
	;; [unrolled: 1-line block ×4, first 2 shown]
	s_waitcnt lgkmcnt(0)
	v_add_f32_e32 v2, v4, v2
	v_add_f32_e32 v3, v5, v3
	ds_write_b64 v19, v[2:3]
.LBB17_12:
	s_or_b32 exec_lo, exec_lo, s1
	s_waitcnt lgkmcnt(0)
	s_barrier
	buffer_gl0_inv
	s_and_saveexec_b32 s0, vcc_lo
	s_cbranch_execz .LBB17_15
; %bb.13:
	s_mul_i32 s0, s25, s8
	s_mul_hi_u32 s1, s24, s8
	v_mov_b32_e32 v4, 0
	s_add_i32 s1, s1, s0
	s_mul_i32 s0, s24, s8
	v_mad_u64_u32 v[2:3], null, s6, v0, 0
	s_lshl_b64 s[0:1], s[0:1], 3
	ds_read_b64 v[7:8], v4
	s_add_u32 s0, s22, s0
	s_addc_u32 s1, s23, s1
	s_add_i32 s11, s28, s9
	s_load_dwordx2 s[0:1], s[0:1], 0x0
	v_mad_u64_u32 v[3:4], null, s7, v0, v[3:4]
	s_lshl_b64 s[2:3], s[2:3], 3
	s_lshl_b64 s[4:5], s[4:5], 3
	;; [unrolled: 1-line block ×3, first 2 shown]
	s_add_u32 s2, s26, s2
	s_addc_u32 s3, s27, s3
	s_add_u32 s2, s2, s4
	v_lshlrev_b64 v[2:3], 3, v[2:3]
	s_addc_u32 s3, s3, s5
	s_add_u32 s2, s2, s8
	s_addc_u32 s3, s3, s9
	v_add3_u32 v6, v6, 0, 0x100
	v_add_co_u32 v2, vcc_lo, s2, v2
	v_add_co_ci_u32_e64 v3, null, s3, v3, vcc_lo
	s_lshl_b64 s[2:3], s[6:7], 13
	s_waitcnt lgkmcnt(0)
	v_mul_f32_e32 v4, s0, v7
	v_mul_f32_e32 v5, s0, v8
	v_add_co_u32 v2, vcc_lo, v2, 4
	v_add_co_ci_u32_e64 v3, null, 0, v3, vcc_lo
	v_fma_f32 v4, s1, v8, -v4
	v_fma_f32 v5, v7, -s1, -v5
	s_mov_b32 s1, 0
	.p2align	6
.LBB17_14:                              ; =>This Inner Loop Header: Depth=1
	global_load_dwordx2 v[7:8], v[2:3], off offset:-4
	ds_read_b64 v[9:10], v6
	v_add_co_u32 v0, vcc_lo, 0x400, v0
	v_add_co_ci_u32_e64 v1, null, 0, v1, vcc_lo
	v_add_nc_u32_e32 v6, 0x2000, v6
	v_cmp_le_i64_e32 vcc_lo, s[12:13], v[0:1]
	s_or_b32 s1, vcc_lo, s1
	s_waitcnt lgkmcnt(0)
	v_mul_f32_e32 v11, v5, v10
	v_mul_f32_e32 v10, v4, v10
	v_fmac_f32_e32 v11, v4, v9
	v_fma_f32 v9, v5, v9, -v10
	s_waitcnt vmcnt(0)
	v_add_f32_e32 v7, v7, v11
	v_add_f32_e32 v8, v9, v8
	global_store_dwordx2 v[2:3], v[7:8], off offset:-4
	v_add_co_u32 v2, s0, v2, s2
	v_add_co_ci_u32_e64 v3, null, s3, v3, s0
	s_andn2_b32 exec_lo, exec_lo, s1
	s_cbranch_execnz .LBB17_14
.LBB17_15:
	s_endpgm
	.section	.rodata,"a",@progbits
	.p2align	6, 0x0
	.amdhsa_kernel _ZN9rocsolver6v33100L17larf_right_kernelILi1024E19rocblas_complex_numIfElPS3_EEvT1_S5_T2_lS5_lPKT0_lS6_lS5_l
		.amdhsa_group_segment_fixed_size 0
		.amdhsa_private_segment_fixed_size 0
		.amdhsa_kernarg_size 96
		.amdhsa_user_sgpr_count 6
		.amdhsa_user_sgpr_private_segment_buffer 1
		.amdhsa_user_sgpr_dispatch_ptr 0
		.amdhsa_user_sgpr_queue_ptr 0
		.amdhsa_user_sgpr_kernarg_segment_ptr 1
		.amdhsa_user_sgpr_dispatch_id 0
		.amdhsa_user_sgpr_flat_scratch_init 0
		.amdhsa_user_sgpr_private_segment_size 0
		.amdhsa_wavefront_size32 1
		.amdhsa_uses_dynamic_stack 0
		.amdhsa_system_sgpr_private_segment_wavefront_offset 0
		.amdhsa_system_sgpr_workgroup_id_x 1
		.amdhsa_system_sgpr_workgroup_id_y 1
		.amdhsa_system_sgpr_workgroup_id_z 1
		.amdhsa_system_sgpr_workgroup_info 0
		.amdhsa_system_vgpr_workitem_id 0
		.amdhsa_next_free_vgpr 20
		.amdhsa_next_free_sgpr 30
		.amdhsa_reserve_vcc 1
		.amdhsa_reserve_flat_scratch 0
		.amdhsa_float_round_mode_32 0
		.amdhsa_float_round_mode_16_64 0
		.amdhsa_float_denorm_mode_32 3
		.amdhsa_float_denorm_mode_16_64 3
		.amdhsa_dx10_clamp 1
		.amdhsa_ieee_mode 1
		.amdhsa_fp16_overflow 0
		.amdhsa_workgroup_processor_mode 1
		.amdhsa_memory_ordered 1
		.amdhsa_forward_progress 1
		.amdhsa_shared_vgpr_count 0
		.amdhsa_exception_fp_ieee_invalid_op 0
		.amdhsa_exception_fp_denorm_src 0
		.amdhsa_exception_fp_ieee_div_zero 0
		.amdhsa_exception_fp_ieee_overflow 0
		.amdhsa_exception_fp_ieee_underflow 0
		.amdhsa_exception_fp_ieee_inexact 0
		.amdhsa_exception_int_div_zero 0
	.end_amdhsa_kernel
	.section	.text._ZN9rocsolver6v33100L17larf_right_kernelILi1024E19rocblas_complex_numIfElPS3_EEvT1_S5_T2_lS5_lPKT0_lS6_lS5_l,"axG",@progbits,_ZN9rocsolver6v33100L17larf_right_kernelILi1024E19rocblas_complex_numIfElPS3_EEvT1_S5_T2_lS5_lPKT0_lS6_lS5_l,comdat
.Lfunc_end17:
	.size	_ZN9rocsolver6v33100L17larf_right_kernelILi1024E19rocblas_complex_numIfElPS3_EEvT1_S5_T2_lS5_lPKT0_lS6_lS5_l, .Lfunc_end17-_ZN9rocsolver6v33100L17larf_right_kernelILi1024E19rocblas_complex_numIfElPS3_EEvT1_S5_T2_lS5_lPKT0_lS6_lS5_l
                                        ; -- End function
	.set _ZN9rocsolver6v33100L17larf_right_kernelILi1024E19rocblas_complex_numIfElPS3_EEvT1_S5_T2_lS5_lPKT0_lS6_lS5_l.num_vgpr, 20
	.set _ZN9rocsolver6v33100L17larf_right_kernelILi1024E19rocblas_complex_numIfElPS3_EEvT1_S5_T2_lS5_lPKT0_lS6_lS5_l.num_agpr, 0
	.set _ZN9rocsolver6v33100L17larf_right_kernelILi1024E19rocblas_complex_numIfElPS3_EEvT1_S5_T2_lS5_lPKT0_lS6_lS5_l.numbered_sgpr, 30
	.set _ZN9rocsolver6v33100L17larf_right_kernelILi1024E19rocblas_complex_numIfElPS3_EEvT1_S5_T2_lS5_lPKT0_lS6_lS5_l.num_named_barrier, 0
	.set _ZN9rocsolver6v33100L17larf_right_kernelILi1024E19rocblas_complex_numIfElPS3_EEvT1_S5_T2_lS5_lPKT0_lS6_lS5_l.private_seg_size, 0
	.set _ZN9rocsolver6v33100L17larf_right_kernelILi1024E19rocblas_complex_numIfElPS3_EEvT1_S5_T2_lS5_lPKT0_lS6_lS5_l.uses_vcc, 1
	.set _ZN9rocsolver6v33100L17larf_right_kernelILi1024E19rocblas_complex_numIfElPS3_EEvT1_S5_T2_lS5_lPKT0_lS6_lS5_l.uses_flat_scratch, 0
	.set _ZN9rocsolver6v33100L17larf_right_kernelILi1024E19rocblas_complex_numIfElPS3_EEvT1_S5_T2_lS5_lPKT0_lS6_lS5_l.has_dyn_sized_stack, 0
	.set _ZN9rocsolver6v33100L17larf_right_kernelILi1024E19rocblas_complex_numIfElPS3_EEvT1_S5_T2_lS5_lPKT0_lS6_lS5_l.has_recursion, 0
	.set _ZN9rocsolver6v33100L17larf_right_kernelILi1024E19rocblas_complex_numIfElPS3_EEvT1_S5_T2_lS5_lPKT0_lS6_lS5_l.has_indirect_call, 0
	.section	.AMDGPU.csdata,"",@progbits
; Kernel info:
; codeLenInByte = 1852
; TotalNumSgprs: 32
; NumVgprs: 20
; ScratchSize: 0
; MemoryBound: 0
; FloatMode: 240
; IeeeMode: 1
; LDSByteSize: 0 bytes/workgroup (compile time only)
; SGPRBlocks: 0
; VGPRBlocks: 2
; NumSGPRsForWavesPerEU: 32
; NumVGPRsForWavesPerEU: 20
; Occupancy: 16
; WaveLimiterHint : 0
; COMPUTE_PGM_RSRC2:SCRATCH_EN: 0
; COMPUTE_PGM_RSRC2:USER_SGPR: 6
; COMPUTE_PGM_RSRC2:TRAP_HANDLER: 0
; COMPUTE_PGM_RSRC2:TGID_X_EN: 1
; COMPUTE_PGM_RSRC2:TGID_Y_EN: 1
; COMPUTE_PGM_RSRC2:TGID_Z_EN: 1
; COMPUTE_PGM_RSRC2:TIDIG_COMP_CNT: 0
	.section	.text._ZN9rocsolver6v33100L16larf_left_kernelILi1024E19rocblas_complex_numIdElPS3_EEvT1_S5_T2_lS5_lPKT0_lS6_lS5_l,"axG",@progbits,_ZN9rocsolver6v33100L16larf_left_kernelILi1024E19rocblas_complex_numIdElPS3_EEvT1_S5_T2_lS5_lPKT0_lS6_lS5_l,comdat
	.globl	_ZN9rocsolver6v33100L16larf_left_kernelILi1024E19rocblas_complex_numIdElPS3_EEvT1_S5_T2_lS5_lPKT0_lS6_lS5_l ; -- Begin function _ZN9rocsolver6v33100L16larf_left_kernelILi1024E19rocblas_complex_numIdElPS3_EEvT1_S5_T2_lS5_lPKT0_lS6_lS5_l
	.p2align	8
	.type	_ZN9rocsolver6v33100L16larf_left_kernelILi1024E19rocblas_complex_numIdElPS3_EEvT1_S5_T2_lS5_lPKT0_lS6_lS5_l,@function
_ZN9rocsolver6v33100L16larf_left_kernelILi1024E19rocblas_complex_numIdElPS3_EEvT1_S5_T2_lS5_lPKT0_lS6_lS5_l: ; @_ZN9rocsolver6v33100L16larf_left_kernelILi1024E19rocblas_complex_numIdElPS3_EEvT1_S5_T2_lS5_lPKT0_lS6_lS5_l
; %bb.0:
	s_clause 0x1
	s_load_dwordx16 s[12:27], s[4:5], 0x10
	s_load_dwordx2 s[2:3], s[4:5], 0x0
	s_waitcnt lgkmcnt(0)
	v_cmp_gt_i64_e64 s0, s[16:17], 0
	s_and_b32 vcc_lo, exec_lo, s0
	s_mov_b64 s[0:1], 0
	s_cbranch_vccnz .LBB18_2
; %bb.1:
	s_sub_u32 s0, 1, s2
	s_subb_u32 s1, 0, s3
	s_mul_hi_u32 s6, s16, s0
	s_mul_i32 s1, s16, s1
	s_mul_i32 s9, s17, s0
	s_add_i32 s1, s6, s1
	s_mul_i32 s0, s16, s0
	s_add_i32 s1, s1, s9
.LBB18_2:
	s_load_dwordx4 s[36:39], s[4:5], 0x50
	v_mov_b32_e32 v1, 0
	v_mov_b32_e32 v2, 0
	;; [unrolled: 1-line block ×4, first 2 shown]
	v_lshlrev_b32_e32 v10, 4, v0
	v_cmp_gt_i64_e32 vcc_lo, s[2:3], v[0:1]
	v_mov_b32_e32 v5, 0
	s_mov_b32 s5, 0
	s_waitcnt lgkmcnt(0)
	s_mul_i32 s28, s39, s8
	s_mul_hi_u32 s30, s38, s8
	s_mul_i32 s4, s38, s8
	s_mul_i32 s9, s37, s7
	s_mul_hi_u32 s29, s36, s7
	s_mul_i32 s6, s36, s7
	s_and_saveexec_b32 s31, vcc_lo
	s_cbranch_execz .LBB18_8
; %bb.3:
	v_mad_u64_u32 v[2:3], null, s16, v0, 0
	s_mul_i32 s7, s19, s8
	s_mul_hi_u32 s11, s18, s8
	s_mul_i32 s10, s18, s8
	s_add_i32 s11, s11, s7
	s_lshl_b64 s[14:15], s[14:15], 4
	s_lshl_b64 s[0:1], s[0:1], 4
	v_mad_u64_u32 v[3:4], null, s17, v0, v[3:4]
	s_lshl_b64 s[10:11], s[10:11], 4
	s_add_u32 s7, s12, s14
	s_addc_u32 s12, s13, s15
	s_add_u32 s0, s7, s0
	v_add3_u32 v11, v10, 0, 0x200
	s_addc_u32 s1, s12, s1
	v_lshlrev_b64 v[2:3], 4, v[2:3]
	s_add_u32 s0, s0, s10
	s_addc_u32 s1, s1, s11
	v_mov_b32_e32 v5, v1
	v_mov_b32_e32 v6, v11
	;; [unrolled: 1-line block ×3, first 2 shown]
	v_add_co_u32 v2, s0, s0, v2
	v_add_co_ci_u32_e64 v3, null, s1, v3, s0
	s_lshl_b64 s[10:11], s[16:17], 14
	.p2align	6
.LBB18_4:                               ; =>This Inner Loop Header: Depth=1
	global_load_dwordx4 v[12:15], v[2:3], off
	v_add_co_u32 v4, s0, 0x400, v4
	v_add_co_ci_u32_e64 v5, null, 0, v5, s0
	v_add_co_u32 v2, s0, v2, s10
	v_add_co_ci_u32_e64 v3, null, s11, v3, s0
	v_cmp_le_i64_e64 s1, s[2:3], v[4:5]
	s_or_b32 s5, s1, s5
	s_waitcnt vmcnt(0)
	ds_write2_b64 v6, v[12:13], v[14:15] offset1:1
	v_add_nc_u32_e32 v6, 0x4000, v6
	s_andn2_b32 exec_lo, exec_lo, s5
	s_cbranch_execnz .LBB18_4
; %bb.5:
	s_or_b32 exec_lo, exec_lo, s5
	s_add_i32 s5, s30, s28
	s_add_i32 s7, s29, s9
	s_lshl_b64 s[0:1], s[4:5], 4
	s_lshl_b64 s[10:11], s[6:7], 4
	v_mov_b32_e32 v4, 0
	s_add_u32 s5, s0, s10
	s_addc_u32 s7, s1, s11
	s_lshl_b64 s[0:1], s[26:27], 4
	v_mov_b32_e32 v9, v1
	s_add_u32 s0, s5, s0
	s_addc_u32 s1, s7, s1
	s_add_u32 s0, s24, s0
	s_addc_u32 s1, s25, s1
	v_add_co_u32 v2, s0, s0, v10
	v_add_co_ci_u32_e64 v3, null, s1, 0, s0
	v_mov_b32_e32 v5, 0
	v_add_co_u32 v6, s0, v2, 8
	v_add_co_ci_u32_e64 v7, null, 0, v3, s0
	v_mov_b32_e32 v2, 0
	v_mov_b32_e32 v3, 0
	;; [unrolled: 1-line block ×3, first 2 shown]
	s_mov_b32 s5, 0
	s_inst_prefetch 0x1
	.p2align	6
.LBB18_6:                               ; =>This Inner Loop Header: Depth=1
	global_load_dwordx4 v[12:15], v[6:7], off offset:-8
	ds_read2_b64 v[16:19], v11 offset1:1
	v_add_co_u32 v8, s0, 0x400, v8
	v_add_co_ci_u32_e64 v9, null, 0, v9, s0
	v_add_co_u32 v6, s1, 0x4000, v6
	v_add_co_ci_u32_e64 v7, null, 0, v7, s1
	v_cmp_le_i64_e64 s0, s[2:3], v[8:9]
	v_add_nc_u32_e32 v11, 0x4000, v11
	s_or_b32 s5, s0, s5
	s_waitcnt vmcnt(0) lgkmcnt(0)
	v_mul_f64 v[20:21], v[14:15], v[18:19]
	v_mul_f64 v[14:15], v[14:15], v[16:17]
	v_fma_f64 v[16:17], v[12:13], v[16:17], v[20:21]
	v_fma_f64 v[12:13], v[12:13], v[18:19], -v[14:15]
	v_add_f64 v[4:5], v[4:5], v[16:17]
	v_add_f64 v[2:3], v[2:3], v[12:13]
	s_andn2_b32 exec_lo, exec_lo, s5
	s_cbranch_execnz .LBB18_6
; %bb.7:
	s_inst_prefetch 0x2
	s_or_b32 exec_lo, exec_lo, s5
.LBB18_8:
	s_or_b32 exec_lo, exec_lo, s31
	v_mbcnt_lo_u32_b32 v11, -1, 0
	s_mov_b32 s1, exec_lo
	v_cmp_ne_u32_e64 s0, 31, v11
	v_add_co_ci_u32_e64 v6, null, 0, v11, s0
	v_cmp_gt_u32_e64 s0, 30, v11
	v_lshlrev_b32_e32 v9, 2, v6
	ds_bpermute_b32 v6, v9, v4
	ds_bpermute_b32 v7, v9, v5
	;; [unrolled: 1-line block ×4, first 2 shown]
	s_waitcnt lgkmcnt(2)
	v_add_f64 v[4:5], v[4:5], v[6:7]
	v_cndmask_b32_e64 v6, 0, 2, s0
	s_waitcnt lgkmcnt(0)
	v_add_f64 v[2:3], v[2:3], v[8:9]
	v_cmp_gt_u32_e64 s0, 28, v11
	v_add_lshl_u32 v9, v6, v11, 2
	ds_bpermute_b32 v6, v9, v4
	ds_bpermute_b32 v7, v9, v5
	;; [unrolled: 1-line block ×4, first 2 shown]
	s_waitcnt lgkmcnt(2)
	v_add_f64 v[4:5], v[4:5], v[6:7]
	v_cndmask_b32_e64 v6, 0, 4, s0
	s_waitcnt lgkmcnt(0)
	v_add_f64 v[2:3], v[2:3], v[8:9]
	v_cmp_gt_u32_e64 s0, 24, v11
	v_add_lshl_u32 v9, v6, v11, 2
	ds_bpermute_b32 v6, v9, v4
	ds_bpermute_b32 v7, v9, v5
	;; [unrolled: 1-line block ×4, first 2 shown]
	s_waitcnt lgkmcnt(2)
	v_add_f64 v[4:5], v[4:5], v[6:7]
	v_cndmask_b32_e64 v6, 0, 8, s0
	s_waitcnt lgkmcnt(0)
	v_add_f64 v[2:3], v[2:3], v[8:9]
	v_add_lshl_u32 v9, v6, v11, 2
	ds_bpermute_b32 v6, v9, v4
	ds_bpermute_b32 v7, v9, v5
	;; [unrolled: 1-line block ×4, first 2 shown]
	s_waitcnt lgkmcnt(2)
	v_add_f64 v[4:5], v[4:5], v[6:7]
	s_waitcnt lgkmcnt(0)
	v_add_f64 v[6:7], v[2:3], v[8:9]
	v_lshl_or_b32 v9, v11, 2, 64
	ds_bpermute_b32 v2, v9, v4
	ds_bpermute_b32 v3, v9, v5
	;; [unrolled: 1-line block ×4, first 2 shown]
	s_waitcnt lgkmcnt(2)
	v_add_f64 v[2:3], v[4:5], v[2:3]
	s_waitcnt lgkmcnt(0)
	v_add_f64 v[4:5], v[6:7], v[8:9]
	v_and_b32_e32 v6, 31, v0
	v_cmpx_eq_u32_e32 0, v6
; %bb.9:
	v_lshrrev_b32_e32 v6, 1, v0
	v_add_nc_u32_e32 v6, 0, v6
	ds_write2_b64 v6, v[2:3], v[4:5] offset1:1
; %bb.10:
	s_or_b32 exec_lo, exec_lo, s1
	s_mov_b32 s1, exec_lo
	s_waitcnt lgkmcnt(0)
	s_barrier
	buffer_gl0_inv
	v_cmpx_eq_u32_e32 0, v0
	s_cbranch_execz .LBB18_12
; %bb.11:
	v_mov_b32_e32 v15, 0
	ds_read2_b64 v[6:9], v15 offset0:2 offset1:3
	ds_read2_b64 v[11:14], v15 offset0:4 offset1:5
	s_waitcnt lgkmcnt(1)
	v_add_f64 v[2:3], v[2:3], v[6:7]
	v_add_f64 v[4:5], v[4:5], v[8:9]
	s_waitcnt lgkmcnt(0)
	v_add_f64 v[11:12], v[2:3], v[11:12]
	v_add_f64 v[13:14], v[4:5], v[13:14]
	ds_read2_b64 v[2:5], v15 offset0:6 offset1:7
	ds_read2_b64 v[6:9], v15 offset0:8 offset1:9
	s_waitcnt lgkmcnt(1)
	v_add_f64 v[2:3], v[11:12], v[2:3]
	v_add_f64 v[4:5], v[13:14], v[4:5]
	s_waitcnt lgkmcnt(0)
	v_add_f64 v[11:12], v[2:3], v[6:7]
	v_add_f64 v[13:14], v[4:5], v[8:9]
	;; [unrolled: 8-line block ×15, first 2 shown]
	ds_read2_b64 v[2:5], v15 offset0:62 offset1:63
	s_waitcnt lgkmcnt(0)
	v_add_f64 v[2:3], v[6:7], v[2:3]
	v_add_f64 v[4:5], v[8:9], v[4:5]
	ds_write2_b64 v15, v[2:3], v[4:5] offset1:1
.LBB18_12:
	s_or_b32 exec_lo, exec_lo, s1
	s_waitcnt lgkmcnt(0)
	s_barrier
	buffer_gl0_inv
	s_and_saveexec_b32 s0, vcc_lo
	s_cbranch_execz .LBB18_15
; %bb.13:
	s_mul_i32 s0, s23, s8
	s_mul_hi_u32 s1, s22, s8
	v_mov_b32_e32 v2, 0
	s_add_i32 s1, s1, s0
	s_mul_i32 s0, s22, s8
	s_lshl_b64 s[0:1], s[0:1], 4
	ds_read2_b64 v[2:5], v2 offset1:1
	s_add_u32 s0, s20, s0
	s_addc_u32 s1, s21, s1
	s_add_i32 s5, s30, s28
	s_load_dwordx4 s[12:15], s[0:1], 0x0
	s_add_i32 s7, s29, s9
	s_lshl_b64 s[0:1], s[4:5], 4
	s_lshl_b64 s[4:5], s[6:7], 4
	s_add_u32 s4, s0, s4
	s_addc_u32 s5, s1, s5
	s_lshl_b64 s[0:1], s[26:27], 4
	s_add_u32 s0, s4, s0
	s_addc_u32 s1, s5, s1
	s_add_u32 s0, s24, s0
	s_addc_u32 s1, s25, s1
	s_waitcnt lgkmcnt(0)
	v_mul_f64 v[6:7], s[14:15], v[4:5]
	v_mul_f64 v[8:9], s[14:15], v[2:3]
	v_fma_f64 v[2:3], v[2:3], -s[12:13], -v[6:7]
	v_fma_f64 v[4:5], s[12:13], v[4:5], -v[8:9]
	v_add_co_u32 v6, s0, s0, v10
	v_add_co_ci_u32_e64 v7, null, s1, 0, s0
	v_add3_u32 v8, v10, 0, 0x200
	v_add_co_u32 v6, vcc_lo, v6, 8
	v_add_co_ci_u32_e64 v7, null, 0, v7, vcc_lo
	s_mov_b32 s1, 0
	s_inst_prefetch 0x1
	.p2align	6
.LBB18_14:                              ; =>This Inner Loop Header: Depth=1
	global_load_dwordx4 v[9:12], v[6:7], off offset:-8
	ds_read2_b64 v[13:16], v8 offset1:1
	v_add_co_u32 v0, vcc_lo, 0x400, v0
	v_add_co_ci_u32_e64 v1, null, 0, v1, vcc_lo
	v_add_nc_u32_e32 v8, 0x4000, v8
	v_cmp_le_i64_e32 vcc_lo, s[2:3], v[0:1]
	s_or_b32 s1, vcc_lo, s1
	s_waitcnt lgkmcnt(0)
	v_mul_f64 v[17:18], v[4:5], v[15:16]
	v_mul_f64 v[15:16], v[2:3], v[15:16]
	v_fma_f64 v[17:18], v[2:3], v[13:14], -v[17:18]
	v_fma_f64 v[13:14], v[4:5], v[13:14], v[15:16]
	s_waitcnt vmcnt(0)
	v_add_f64 v[9:10], v[9:10], v[17:18]
	v_add_f64 v[11:12], v[13:14], v[11:12]
	global_store_dwordx4 v[6:7], v[9:12], off offset:-8
	v_add_co_u32 v6, s0, 0x4000, v6
	v_add_co_ci_u32_e64 v7, null, 0, v7, s0
	s_andn2_b32 exec_lo, exec_lo, s1
	s_cbranch_execnz .LBB18_14
.LBB18_15:
	s_inst_prefetch 0x2
	s_endpgm
	.section	.rodata,"a",@progbits
	.p2align	6, 0x0
	.amdhsa_kernel _ZN9rocsolver6v33100L16larf_left_kernelILi1024E19rocblas_complex_numIdElPS3_EEvT1_S5_T2_lS5_lPKT0_lS6_lS5_l
		.amdhsa_group_segment_fixed_size 0
		.amdhsa_private_segment_fixed_size 0
		.amdhsa_kernarg_size 96
		.amdhsa_user_sgpr_count 6
		.amdhsa_user_sgpr_private_segment_buffer 1
		.amdhsa_user_sgpr_dispatch_ptr 0
		.amdhsa_user_sgpr_queue_ptr 0
		.amdhsa_user_sgpr_kernarg_segment_ptr 1
		.amdhsa_user_sgpr_dispatch_id 0
		.amdhsa_user_sgpr_flat_scratch_init 0
		.amdhsa_user_sgpr_private_segment_size 0
		.amdhsa_wavefront_size32 1
		.amdhsa_uses_dynamic_stack 0
		.amdhsa_system_sgpr_private_segment_wavefront_offset 0
		.amdhsa_system_sgpr_workgroup_id_x 1
		.amdhsa_system_sgpr_workgroup_id_y 1
		.amdhsa_system_sgpr_workgroup_id_z 1
		.amdhsa_system_sgpr_workgroup_info 0
		.amdhsa_system_vgpr_workitem_id 0
		.amdhsa_next_free_vgpr 22
		.amdhsa_next_free_sgpr 40
		.amdhsa_reserve_vcc 1
		.amdhsa_reserve_flat_scratch 0
		.amdhsa_float_round_mode_32 0
		.amdhsa_float_round_mode_16_64 0
		.amdhsa_float_denorm_mode_32 3
		.amdhsa_float_denorm_mode_16_64 3
		.amdhsa_dx10_clamp 1
		.amdhsa_ieee_mode 1
		.amdhsa_fp16_overflow 0
		.amdhsa_workgroup_processor_mode 1
		.amdhsa_memory_ordered 1
		.amdhsa_forward_progress 1
		.amdhsa_shared_vgpr_count 0
		.amdhsa_exception_fp_ieee_invalid_op 0
		.amdhsa_exception_fp_denorm_src 0
		.amdhsa_exception_fp_ieee_div_zero 0
		.amdhsa_exception_fp_ieee_overflow 0
		.amdhsa_exception_fp_ieee_underflow 0
		.amdhsa_exception_fp_ieee_inexact 0
		.amdhsa_exception_int_div_zero 0
	.end_amdhsa_kernel
	.section	.text._ZN9rocsolver6v33100L16larf_left_kernelILi1024E19rocblas_complex_numIdElPS3_EEvT1_S5_T2_lS5_lPKT0_lS6_lS5_l,"axG",@progbits,_ZN9rocsolver6v33100L16larf_left_kernelILi1024E19rocblas_complex_numIdElPS3_EEvT1_S5_T2_lS5_lPKT0_lS6_lS5_l,comdat
.Lfunc_end18:
	.size	_ZN9rocsolver6v33100L16larf_left_kernelILi1024E19rocblas_complex_numIdElPS3_EEvT1_S5_T2_lS5_lPKT0_lS6_lS5_l, .Lfunc_end18-_ZN9rocsolver6v33100L16larf_left_kernelILi1024E19rocblas_complex_numIdElPS3_EEvT1_S5_T2_lS5_lPKT0_lS6_lS5_l
                                        ; -- End function
	.set _ZN9rocsolver6v33100L16larf_left_kernelILi1024E19rocblas_complex_numIdElPS3_EEvT1_S5_T2_lS5_lPKT0_lS6_lS5_l.num_vgpr, 22
	.set _ZN9rocsolver6v33100L16larf_left_kernelILi1024E19rocblas_complex_numIdElPS3_EEvT1_S5_T2_lS5_lPKT0_lS6_lS5_l.num_agpr, 0
	.set _ZN9rocsolver6v33100L16larf_left_kernelILi1024E19rocblas_complex_numIdElPS3_EEvT1_S5_T2_lS5_lPKT0_lS6_lS5_l.numbered_sgpr, 40
	.set _ZN9rocsolver6v33100L16larf_left_kernelILi1024E19rocblas_complex_numIdElPS3_EEvT1_S5_T2_lS5_lPKT0_lS6_lS5_l.num_named_barrier, 0
	.set _ZN9rocsolver6v33100L16larf_left_kernelILi1024E19rocblas_complex_numIdElPS3_EEvT1_S5_T2_lS5_lPKT0_lS6_lS5_l.private_seg_size, 0
	.set _ZN9rocsolver6v33100L16larf_left_kernelILi1024E19rocblas_complex_numIdElPS3_EEvT1_S5_T2_lS5_lPKT0_lS6_lS5_l.uses_vcc, 1
	.set _ZN9rocsolver6v33100L16larf_left_kernelILi1024E19rocblas_complex_numIdElPS3_EEvT1_S5_T2_lS5_lPKT0_lS6_lS5_l.uses_flat_scratch, 0
	.set _ZN9rocsolver6v33100L16larf_left_kernelILi1024E19rocblas_complex_numIdElPS3_EEvT1_S5_T2_lS5_lPKT0_lS6_lS5_l.has_dyn_sized_stack, 0
	.set _ZN9rocsolver6v33100L16larf_left_kernelILi1024E19rocblas_complex_numIdElPS3_EEvT1_S5_T2_lS5_lPKT0_lS6_lS5_l.has_recursion, 0
	.set _ZN9rocsolver6v33100L16larf_left_kernelILi1024E19rocblas_complex_numIdElPS3_EEvT1_S5_T2_lS5_lPKT0_lS6_lS5_l.has_indirect_call, 0
	.section	.AMDGPU.csdata,"",@progbits
; Kernel info:
; codeLenInByte = 2456
; TotalNumSgprs: 42
; NumVgprs: 22
; ScratchSize: 0
; MemoryBound: 0
; FloatMode: 240
; IeeeMode: 1
; LDSByteSize: 0 bytes/workgroup (compile time only)
; SGPRBlocks: 0
; VGPRBlocks: 2
; NumSGPRsForWavesPerEU: 42
; NumVGPRsForWavesPerEU: 22
; Occupancy: 16
; WaveLimiterHint : 0
; COMPUTE_PGM_RSRC2:SCRATCH_EN: 0
; COMPUTE_PGM_RSRC2:USER_SGPR: 6
; COMPUTE_PGM_RSRC2:TRAP_HANDLER: 0
; COMPUTE_PGM_RSRC2:TGID_X_EN: 1
; COMPUTE_PGM_RSRC2:TGID_Y_EN: 1
; COMPUTE_PGM_RSRC2:TGID_Z_EN: 1
; COMPUTE_PGM_RSRC2:TIDIG_COMP_CNT: 0
	.section	.text._ZN9rocsolver6v33100L17larf_right_kernelILi1024E19rocblas_complex_numIdElPS3_EEvT1_S5_T2_lS5_lPKT0_lS6_lS5_l,"axG",@progbits,_ZN9rocsolver6v33100L17larf_right_kernelILi1024E19rocblas_complex_numIdElPS3_EEvT1_S5_T2_lS5_lPKT0_lS6_lS5_l,comdat
	.globl	_ZN9rocsolver6v33100L17larf_right_kernelILi1024E19rocblas_complex_numIdElPS3_EEvT1_S5_T2_lS5_lPKT0_lS6_lS5_l ; -- Begin function _ZN9rocsolver6v33100L17larf_right_kernelILi1024E19rocblas_complex_numIdElPS3_EEvT1_S5_T2_lS5_lPKT0_lS6_lS5_l
	.p2align	8
	.type	_ZN9rocsolver6v33100L17larf_right_kernelILi1024E19rocblas_complex_numIdElPS3_EEvT1_S5_T2_lS5_lPKT0_lS6_lS5_l,@function
_ZN9rocsolver6v33100L17larf_right_kernelILi1024E19rocblas_complex_numIdElPS3_EEvT1_S5_T2_lS5_lPKT0_lS6_lS5_l: ; @_ZN9rocsolver6v33100L17larf_right_kernelILi1024E19rocblas_complex_numIdElPS3_EEvT1_S5_T2_lS5_lPKT0_lS6_lS5_l
; %bb.0:
	s_load_dwordx16 s[12:27], s[4:5], 0x8
	s_mov_b32 s2, s7
	s_waitcnt lgkmcnt(0)
	v_cmp_gt_i64_e64 s0, s[18:19], 0
	s_and_b32 vcc_lo, exec_lo, s0
	s_mov_b64 s[0:1], 0
	s_cbranch_vccnz .LBB19_2
; %bb.1:
	s_sub_u32 s0, 1, s12
	s_subb_u32 s1, 0, s13
	s_mul_hi_u32 s3, s18, s0
	s_mul_i32 s1, s18, s1
	s_mul_i32 s6, s19, s0
	s_add_i32 s1, s3, s1
	s_mul_i32 s0, s18, s0
	s_add_i32 s1, s1, s6
.LBB19_2:
	s_clause 0x1
	s_load_dwordx2 s[10:11], s[4:5], 0x58
	s_load_dwordx4 s[4:7], s[4:5], 0x48
	v_mov_b32_e32 v1, 0
	v_mov_b32_e32 v2, 0
	;; [unrolled: 1-line block ×5, first 2 shown]
	v_cmp_gt_i64_e32 vcc_lo, s[12:13], v[0:1]
	v_lshlrev_b32_e32 v10, 4, v0
	s_mov_b32 s3, 0
	s_waitcnt lgkmcnt(0)
	s_mul_i32 s9, s11, s8
	s_mul_hi_u32 s28, s10, s8
	s_mul_i32 s10, s10, s8
	s_and_saveexec_b32 s29, vcc_lo
	s_cbranch_execz .LBB19_8
; %bb.3:
	v_mad_u64_u32 v[2:3], null, s18, v0, 0
	s_mul_i32 s11, s21, s8
	s_mul_hi_u32 s21, s20, s8
	s_mul_i32 s20, s20, s8
	s_add_i32 s21, s21, s11
	s_lshl_b64 s[16:17], s[16:17], 4
	s_lshl_b64 s[0:1], s[0:1], 4
	v_mad_u64_u32 v[3:4], null, s19, v0, v[3:4]
	s_lshl_b64 s[20:21], s[20:21], 4
	s_add_u32 s11, s14, s16
	s_addc_u32 s14, s15, s17
	s_add_u32 s0, s11, s0
	v_add3_u32 v11, v10, 0, 0x200
	s_addc_u32 s1, s14, s1
	v_lshlrev_b64 v[2:3], 4, v[2:3]
	s_add_u32 s0, s0, s20
	s_addc_u32 s1, s1, s21
	v_mov_b32_e32 v5, v1
	v_mov_b32_e32 v6, v11
	;; [unrolled: 1-line block ×3, first 2 shown]
	v_add_co_u32 v2, s0, s0, v2
	v_add_co_ci_u32_e64 v3, null, s1, v3, s0
	s_lshl_b64 s[14:15], s[18:19], 14
	s_mov_b32 s11, s3
	.p2align	6
.LBB19_4:                               ; =>This Inner Loop Header: Depth=1
	global_load_dwordx4 v[12:15], v[2:3], off
	v_add_co_u32 v4, s0, 0x400, v4
	v_add_co_ci_u32_e64 v5, null, 0, v5, s0
	v_add_co_u32 v2, s0, v2, s14
	v_add_co_ci_u32_e64 v3, null, s15, v3, s0
	v_cmp_le_i64_e64 s1, s[12:13], v[4:5]
	s_or_b32 s11, s1, s11
	s_waitcnt vmcnt(0)
	ds_write2_b64 v6, v[12:13], v[14:15] offset1:1
	v_add_nc_u32_e32 v6, 0x4000, v6
	s_andn2_b32 exec_lo, exec_lo, s11
	s_cbranch_execnz .LBB19_4
; %bb.5:
	s_or_b32 exec_lo, exec_lo, s11
	v_mad_u64_u32 v[4:5], null, s6, v0, 0
	s_add_i32 s11, s28, s9
	s_lshl_b64 s[14:15], s[2:3], 4
	s_lshl_b64 s[0:1], s[4:5], 4
	;; [unrolled: 1-line block ×3, first 2 shown]
	s_add_u32 s11, s26, s14
	s_addc_u32 s14, s27, s15
	v_mov_b32_e32 v2, v5
	s_add_u32 s0, s11, s0
	s_addc_u32 s1, s14, s1
	s_add_u32 s0, s0, s16
	s_addc_u32 s1, s1, s17
	v_mad_u64_u32 v[2:3], null, s7, v0, v[2:3]
	v_mov_b32_e32 v9, v1
	v_mov_b32_e32 v8, v0
	s_lshl_b64 s[14:15], s[6:7], 14
	s_mov_b32 s11, 0
	v_mov_b32_e32 v5, v2
	v_mov_b32_e32 v2, 0
	;; [unrolled: 1-line block ×3, first 2 shown]
	v_lshlrev_b64 v[4:5], 4, v[4:5]
	v_add_co_u32 v6, s0, s0, v4
	v_add_co_ci_u32_e64 v7, null, s1, v5, s0
	v_mov_b32_e32 v4, 0
	v_add_co_u32 v6, s0, v6, 8
	v_mov_b32_e32 v5, 0
	v_add_co_ci_u32_e64 v7, null, 0, v7, s0
	.p2align	6
.LBB19_6:                               ; =>This Inner Loop Header: Depth=1
	global_load_dwordx4 v[12:15], v[6:7], off offset:-8
	ds_read2_b64 v[16:19], v11 offset1:1
	v_add_co_u32 v8, s0, 0x400, v8
	v_add_co_ci_u32_e64 v9, null, 0, v9, s0
	v_add_co_u32 v6, s1, v6, s14
	v_add_co_ci_u32_e64 v7, null, s15, v7, s1
	v_cmp_le_i64_e64 s0, s[12:13], v[8:9]
	v_add_nc_u32_e32 v11, 0x4000, v11
	s_or_b32 s11, s0, s11
	s_waitcnt vmcnt(0) lgkmcnt(0)
	v_mul_f64 v[20:21], v[18:19], v[14:15]
	v_mul_f64 v[14:15], v[16:17], v[14:15]
	v_fma_f64 v[16:17], v[16:17], v[12:13], -v[20:21]
	v_fma_f64 v[12:13], v[18:19], v[12:13], v[14:15]
	v_add_f64 v[4:5], v[4:5], v[16:17]
	v_add_f64 v[2:3], v[2:3], v[12:13]
	s_andn2_b32 exec_lo, exec_lo, s11
	s_cbranch_execnz .LBB19_6
; %bb.7:
	s_or_b32 exec_lo, exec_lo, s11
.LBB19_8:
	s_or_b32 exec_lo, exec_lo, s29
	v_mbcnt_lo_u32_b32 v11, -1, 0
	s_mov_b32 s1, exec_lo
	v_cmp_ne_u32_e64 s0, 31, v11
	v_add_co_ci_u32_e64 v6, null, 0, v11, s0
	v_cmp_gt_u32_e64 s0, 30, v11
	v_lshlrev_b32_e32 v9, 2, v6
	ds_bpermute_b32 v6, v9, v4
	ds_bpermute_b32 v7, v9, v5
	;; [unrolled: 1-line block ×4, first 2 shown]
	s_waitcnt lgkmcnt(2)
	v_add_f64 v[4:5], v[4:5], v[6:7]
	v_cndmask_b32_e64 v6, 0, 2, s0
	s_waitcnt lgkmcnt(0)
	v_add_f64 v[2:3], v[2:3], v[8:9]
	v_cmp_gt_u32_e64 s0, 28, v11
	v_add_lshl_u32 v9, v6, v11, 2
	ds_bpermute_b32 v6, v9, v4
	ds_bpermute_b32 v7, v9, v5
	;; [unrolled: 1-line block ×4, first 2 shown]
	s_waitcnt lgkmcnt(2)
	v_add_f64 v[4:5], v[4:5], v[6:7]
	v_cndmask_b32_e64 v6, 0, 4, s0
	s_waitcnt lgkmcnt(0)
	v_add_f64 v[2:3], v[2:3], v[8:9]
	v_cmp_gt_u32_e64 s0, 24, v11
	v_add_lshl_u32 v9, v6, v11, 2
	ds_bpermute_b32 v6, v9, v4
	ds_bpermute_b32 v7, v9, v5
	;; [unrolled: 1-line block ×4, first 2 shown]
	s_waitcnt lgkmcnt(2)
	v_add_f64 v[4:5], v[4:5], v[6:7]
	v_cndmask_b32_e64 v6, 0, 8, s0
	s_waitcnt lgkmcnt(0)
	v_add_f64 v[2:3], v[2:3], v[8:9]
	v_add_lshl_u32 v9, v6, v11, 2
	ds_bpermute_b32 v6, v9, v4
	ds_bpermute_b32 v7, v9, v5
	;; [unrolled: 1-line block ×4, first 2 shown]
	s_waitcnt lgkmcnt(2)
	v_add_f64 v[4:5], v[4:5], v[6:7]
	s_waitcnt lgkmcnt(0)
	v_add_f64 v[6:7], v[2:3], v[8:9]
	v_lshl_or_b32 v9, v11, 2, 64
	ds_bpermute_b32 v2, v9, v4
	ds_bpermute_b32 v3, v9, v5
	;; [unrolled: 1-line block ×4, first 2 shown]
	s_waitcnt lgkmcnt(2)
	v_add_f64 v[2:3], v[4:5], v[2:3]
	s_waitcnt lgkmcnt(0)
	v_add_f64 v[4:5], v[6:7], v[8:9]
	v_and_b32_e32 v6, 31, v0
	v_cmpx_eq_u32_e32 0, v6
; %bb.9:
	v_lshrrev_b32_e32 v6, 1, v0
	v_add_nc_u32_e32 v6, 0, v6
	ds_write2_b64 v6, v[2:3], v[4:5] offset1:1
; %bb.10:
	s_or_b32 exec_lo, exec_lo, s1
	s_mov_b32 s1, exec_lo
	s_waitcnt lgkmcnt(0)
	s_barrier
	buffer_gl0_inv
	v_cmpx_eq_u32_e32 0, v0
	s_cbranch_execz .LBB19_12
; %bb.11:
	v_mov_b32_e32 v15, 0
	ds_read2_b64 v[6:9], v15 offset0:2 offset1:3
	ds_read2_b64 v[11:14], v15 offset0:4 offset1:5
	s_waitcnt lgkmcnt(1)
	v_add_f64 v[2:3], v[2:3], v[6:7]
	v_add_f64 v[4:5], v[4:5], v[8:9]
	s_waitcnt lgkmcnt(0)
	v_add_f64 v[11:12], v[2:3], v[11:12]
	v_add_f64 v[13:14], v[4:5], v[13:14]
	ds_read2_b64 v[2:5], v15 offset0:6 offset1:7
	ds_read2_b64 v[6:9], v15 offset0:8 offset1:9
	s_waitcnt lgkmcnt(1)
	v_add_f64 v[2:3], v[11:12], v[2:3]
	v_add_f64 v[4:5], v[13:14], v[4:5]
	s_waitcnt lgkmcnt(0)
	v_add_f64 v[11:12], v[2:3], v[6:7]
	v_add_f64 v[13:14], v[4:5], v[8:9]
	;; [unrolled: 8-line block ×15, first 2 shown]
	ds_read2_b64 v[2:5], v15 offset0:62 offset1:63
	s_waitcnt lgkmcnt(0)
	v_add_f64 v[2:3], v[6:7], v[2:3]
	v_add_f64 v[4:5], v[8:9], v[4:5]
	ds_write2_b64 v15, v[2:3], v[4:5] offset1:1
.LBB19_12:
	s_or_b32 exec_lo, exec_lo, s1
	s_waitcnt lgkmcnt(0)
	s_barrier
	buffer_gl0_inv
	s_and_saveexec_b32 s0, vcc_lo
	s_cbranch_execz .LBB19_15
; %bb.13:
	s_mul_i32 s0, s25, s8
	s_mul_hi_u32 s1, s24, s8
	v_mov_b32_e32 v2, 0
	s_add_i32 s1, s1, s0
	s_mul_i32 s0, s24, s8
	s_lshl_b64 s[0:1], s[0:1], 4
	ds_read2_b64 v[4:7], v2 offset1:1
	s_add_u32 s0, s22, s0
	s_addc_u32 s1, s23, s1
	v_mad_u64_u32 v[2:3], null, s6, v0, 0
	s_load_dwordx4 s[16:19], s[0:1], 0x0
	s_add_i32 s11, s28, s9
	s_lshl_b64 s[2:3], s[2:3], 4
	s_lshl_b64 s[0:1], s[10:11], 4
	;; [unrolled: 1-line block ×3, first 2 shown]
	s_add_u32 s2, s26, s2
	s_addc_u32 s3, s27, s3
	s_add_u32 s2, s2, s4
	s_addc_u32 s3, s3, s5
	;; [unrolled: 2-line block ×3, first 2 shown]
	s_lshl_b64 s[2:3], s[6:7], 14
	s_waitcnt lgkmcnt(0)
	v_mad_u64_u32 v[13:14], null, s7, v0, v[3:4]
	v_mul_f64 v[8:9], s[16:17], v[4:5]
	v_mul_f64 v[11:12], s[16:17], v[6:7]
	v_mov_b32_e32 v3, v13
	v_lshlrev_b64 v[13:14], 4, v[2:3]
	v_fma_f64 v[2:3], s[18:19], v[6:7], -v[8:9]
	v_fma_f64 v[4:5], v[4:5], -s[18:19], -v[11:12]
	v_add_co_u32 v6, vcc_lo, s0, v13
	v_add_co_ci_u32_e64 v7, null, s1, v14, vcc_lo
	v_add3_u32 v8, v10, 0, 0x200
	v_add_co_u32 v6, vcc_lo, v6, 8
	v_add_co_ci_u32_e64 v7, null, 0, v7, vcc_lo
	s_mov_b32 s1, 0
	s_inst_prefetch 0x1
	.p2align	6
.LBB19_14:                              ; =>This Inner Loop Header: Depth=1
	global_load_dwordx4 v[9:12], v[6:7], off offset:-8
	ds_read2_b64 v[13:16], v8 offset1:1
	v_add_co_u32 v0, vcc_lo, 0x400, v0
	v_add_co_ci_u32_e64 v1, null, 0, v1, vcc_lo
	v_add_nc_u32_e32 v8, 0x4000, v8
	v_cmp_le_i64_e32 vcc_lo, s[12:13], v[0:1]
	s_or_b32 s1, vcc_lo, s1
	s_waitcnt lgkmcnt(0)
	v_mul_f64 v[17:18], v[4:5], v[15:16]
	v_mul_f64 v[15:16], v[2:3], v[15:16]
	v_fma_f64 v[17:18], v[2:3], v[13:14], v[17:18]
	v_fma_f64 v[13:14], v[4:5], v[13:14], -v[15:16]
	s_waitcnt vmcnt(0)
	v_add_f64 v[9:10], v[9:10], v[17:18]
	v_add_f64 v[11:12], v[13:14], v[11:12]
	global_store_dwordx4 v[6:7], v[9:12], off offset:-8
	v_add_co_u32 v6, s0, v6, s2
	v_add_co_ci_u32_e64 v7, null, s3, v7, s0
	s_andn2_b32 exec_lo, exec_lo, s1
	s_cbranch_execnz .LBB19_14
.LBB19_15:
	s_inst_prefetch 0x2
	s_endpgm
	.section	.rodata,"a",@progbits
	.p2align	6, 0x0
	.amdhsa_kernel _ZN9rocsolver6v33100L17larf_right_kernelILi1024E19rocblas_complex_numIdElPS3_EEvT1_S5_T2_lS5_lPKT0_lS6_lS5_l
		.amdhsa_group_segment_fixed_size 0
		.amdhsa_private_segment_fixed_size 0
		.amdhsa_kernarg_size 96
		.amdhsa_user_sgpr_count 6
		.amdhsa_user_sgpr_private_segment_buffer 1
		.amdhsa_user_sgpr_dispatch_ptr 0
		.amdhsa_user_sgpr_queue_ptr 0
		.amdhsa_user_sgpr_kernarg_segment_ptr 1
		.amdhsa_user_sgpr_dispatch_id 0
		.amdhsa_user_sgpr_flat_scratch_init 0
		.amdhsa_user_sgpr_private_segment_size 0
		.amdhsa_wavefront_size32 1
		.amdhsa_uses_dynamic_stack 0
		.amdhsa_system_sgpr_private_segment_wavefront_offset 0
		.amdhsa_system_sgpr_workgroup_id_x 1
		.amdhsa_system_sgpr_workgroup_id_y 1
		.amdhsa_system_sgpr_workgroup_id_z 1
		.amdhsa_system_sgpr_workgroup_info 0
		.amdhsa_system_vgpr_workitem_id 0
		.amdhsa_next_free_vgpr 22
		.amdhsa_next_free_sgpr 30
		.amdhsa_reserve_vcc 1
		.amdhsa_reserve_flat_scratch 0
		.amdhsa_float_round_mode_32 0
		.amdhsa_float_round_mode_16_64 0
		.amdhsa_float_denorm_mode_32 3
		.amdhsa_float_denorm_mode_16_64 3
		.amdhsa_dx10_clamp 1
		.amdhsa_ieee_mode 1
		.amdhsa_fp16_overflow 0
		.amdhsa_workgroup_processor_mode 1
		.amdhsa_memory_ordered 1
		.amdhsa_forward_progress 1
		.amdhsa_shared_vgpr_count 0
		.amdhsa_exception_fp_ieee_invalid_op 0
		.amdhsa_exception_fp_denorm_src 0
		.amdhsa_exception_fp_ieee_div_zero 0
		.amdhsa_exception_fp_ieee_overflow 0
		.amdhsa_exception_fp_ieee_underflow 0
		.amdhsa_exception_fp_ieee_inexact 0
		.amdhsa_exception_int_div_zero 0
	.end_amdhsa_kernel
	.section	.text._ZN9rocsolver6v33100L17larf_right_kernelILi1024E19rocblas_complex_numIdElPS3_EEvT1_S5_T2_lS5_lPKT0_lS6_lS5_l,"axG",@progbits,_ZN9rocsolver6v33100L17larf_right_kernelILi1024E19rocblas_complex_numIdElPS3_EEvT1_S5_T2_lS5_lPKT0_lS6_lS5_l,comdat
.Lfunc_end19:
	.size	_ZN9rocsolver6v33100L17larf_right_kernelILi1024E19rocblas_complex_numIdElPS3_EEvT1_S5_T2_lS5_lPKT0_lS6_lS5_l, .Lfunc_end19-_ZN9rocsolver6v33100L17larf_right_kernelILi1024E19rocblas_complex_numIdElPS3_EEvT1_S5_T2_lS5_lPKT0_lS6_lS5_l
                                        ; -- End function
	.set _ZN9rocsolver6v33100L17larf_right_kernelILi1024E19rocblas_complex_numIdElPS3_EEvT1_S5_T2_lS5_lPKT0_lS6_lS5_l.num_vgpr, 22
	.set _ZN9rocsolver6v33100L17larf_right_kernelILi1024E19rocblas_complex_numIdElPS3_EEvT1_S5_T2_lS5_lPKT0_lS6_lS5_l.num_agpr, 0
	.set _ZN9rocsolver6v33100L17larf_right_kernelILi1024E19rocblas_complex_numIdElPS3_EEvT1_S5_T2_lS5_lPKT0_lS6_lS5_l.numbered_sgpr, 30
	.set _ZN9rocsolver6v33100L17larf_right_kernelILi1024E19rocblas_complex_numIdElPS3_EEvT1_S5_T2_lS5_lPKT0_lS6_lS5_l.num_named_barrier, 0
	.set _ZN9rocsolver6v33100L17larf_right_kernelILi1024E19rocblas_complex_numIdElPS3_EEvT1_S5_T2_lS5_lPKT0_lS6_lS5_l.private_seg_size, 0
	.set _ZN9rocsolver6v33100L17larf_right_kernelILi1024E19rocblas_complex_numIdElPS3_EEvT1_S5_T2_lS5_lPKT0_lS6_lS5_l.uses_vcc, 1
	.set _ZN9rocsolver6v33100L17larf_right_kernelILi1024E19rocblas_complex_numIdElPS3_EEvT1_S5_T2_lS5_lPKT0_lS6_lS5_l.uses_flat_scratch, 0
	.set _ZN9rocsolver6v33100L17larf_right_kernelILi1024E19rocblas_complex_numIdElPS3_EEvT1_S5_T2_lS5_lPKT0_lS6_lS5_l.has_dyn_sized_stack, 0
	.set _ZN9rocsolver6v33100L17larf_right_kernelILi1024E19rocblas_complex_numIdElPS3_EEvT1_S5_T2_lS5_lPKT0_lS6_lS5_l.has_recursion, 0
	.set _ZN9rocsolver6v33100L17larf_right_kernelILi1024E19rocblas_complex_numIdElPS3_EEvT1_S5_T2_lS5_lPKT0_lS6_lS5_l.has_indirect_call, 0
	.section	.AMDGPU.csdata,"",@progbits
; Kernel info:
; codeLenInByte = 2452
; TotalNumSgprs: 32
; NumVgprs: 22
; ScratchSize: 0
; MemoryBound: 0
; FloatMode: 240
; IeeeMode: 1
; LDSByteSize: 0 bytes/workgroup (compile time only)
; SGPRBlocks: 0
; VGPRBlocks: 2
; NumSGPRsForWavesPerEU: 32
; NumVGPRsForWavesPerEU: 22
; Occupancy: 16
; WaveLimiterHint : 0
; COMPUTE_PGM_RSRC2:SCRATCH_EN: 0
; COMPUTE_PGM_RSRC2:USER_SGPR: 6
; COMPUTE_PGM_RSRC2:TRAP_HANDLER: 0
; COMPUTE_PGM_RSRC2:TGID_X_EN: 1
; COMPUTE_PGM_RSRC2:TGID_Y_EN: 1
; COMPUTE_PGM_RSRC2:TGID_Z_EN: 1
; COMPUTE_PGM_RSRC2:TIDIG_COMP_CNT: 0
	.section	.AMDGPU.gpr_maximums,"",@progbits
	.set amdgpu.max_num_vgpr, 0
	.set amdgpu.max_num_agpr, 0
	.set amdgpu.max_num_sgpr, 0
	.section	.AMDGPU.csdata,"",@progbits
	.type	__hip_cuid_15e10d0d29c34729,@object ; @__hip_cuid_15e10d0d29c34729
	.section	.bss,"aw",@nobits
	.globl	__hip_cuid_15e10d0d29c34729
__hip_cuid_15e10d0d29c34729:
	.byte	0                               ; 0x0
	.size	__hip_cuid_15e10d0d29c34729, 1

	.ident	"AMD clang version 22.0.0git (https://github.com/RadeonOpenCompute/llvm-project roc-7.2.4 26084 f58b06dce1f9c15707c5f808fd002e18c2accf7e)"
	.section	".note.GNU-stack","",@progbits
	.addrsig
	.addrsig_sym __hip_cuid_15e10d0d29c34729
	.amdgpu_metadata
---
amdhsa.kernels:
  - .args:
      - .address_space:  global
        .offset:         0
        .size:           8
        .value_kind:     global_buffer
      - .offset:         8
        .size:           4
        .value_kind:     by_value
      - .offset:         12
        .size:           4
        .value_kind:     by_value
    .group_segment_fixed_size: 0
    .kernarg_segment_align: 8
    .kernarg_segment_size: 16
    .language:       OpenCL C
    .language_version:
      - 2
      - 0
    .max_flat_workgroup_size: 32
    .name:           _ZN9rocsolver6v33100L6iota_nIfEEvPT_jS2_
    .private_segment_fixed_size: 0
    .sgpr_count:     8
    .sgpr_spill_count: 0
    .symbol:         _ZN9rocsolver6v33100L6iota_nIfEEvPT_jS2_.kd
    .uniform_work_group_size: 1
    .uses_dynamic_stack: false
    .vgpr_count:     2
    .vgpr_spill_count: 0
    .wavefront_size: 32
    .workgroup_processor_mode: 1
  - .args:
      - .offset:         0
        .size:           4
        .value_kind:     by_value
      - .offset:         4
        .size:           4
        .value_kind:     by_value
      - .address_space:  global
        .offset:         8
        .size:           8
        .value_kind:     global_buffer
      - .offset:         16
        .size:           8
        .value_kind:     by_value
      - .offset:         24
        .size:           4
        .value_kind:     by_value
      - .offset:         32
        .size:           8
        .value_kind:     by_value
      - .address_space:  global
        .offset:         40
        .size:           8
        .value_kind:     global_buffer
      - .offset:         48
        .size:           8
        .value_kind:     by_value
      - .address_space:  global
        .offset:         56
        .size:           8
        .value_kind:     global_buffer
      - .offset:         64
        .size:           8
        .value_kind:     by_value
      - .offset:         72
        .size:           4
        .value_kind:     by_value
      - .offset:         80
        .size:           8
        .value_kind:     by_value
    .group_segment_fixed_size: 0
    .kernarg_segment_align: 8
    .kernarg_segment_size: 88
    .language:       OpenCL C
    .language_version:
      - 2
      - 0
    .max_flat_workgroup_size: 1024
    .name:           _ZN9rocsolver6v33100L16larf_left_kernelILi1024EfiPfEEvT1_S3_T2_lS3_lPKT0_lS4_lS3_l
    .private_segment_fixed_size: 0
    .sgpr_count:     34
    .sgpr_spill_count: 0
    .symbol:         _ZN9rocsolver6v33100L16larf_left_kernelILi1024EfiPfEEvT1_S3_T2_lS3_lPKT0_lS4_lS3_l.kd
    .uniform_work_group_size: 1
    .uses_dynamic_stack: false
    .vgpr_count:     13
    .vgpr_spill_count: 0
    .wavefront_size: 32
    .workgroup_processor_mode: 1
  - .args:
      - .offset:         0
        .size:           4
        .value_kind:     by_value
      - .offset:         4
        .size:           4
        .value_kind:     by_value
      - .address_space:  global
        .offset:         8
        .size:           8
        .value_kind:     global_buffer
      - .offset:         16
        .size:           8
        .value_kind:     by_value
      - .offset:         24
        .size:           4
        .value_kind:     by_value
      - .offset:         32
        .size:           8
        .value_kind:     by_value
      - .address_space:  global
        .offset:         40
        .size:           8
        .value_kind:     global_buffer
      - .offset:         48
        .size:           8
        .value_kind:     by_value
      - .address_space:  global
        .offset:         56
        .size:           8
        .value_kind:     global_buffer
      - .offset:         64
        .size:           8
        .value_kind:     by_value
      - .offset:         72
        .size:           4
        .value_kind:     by_value
      - .offset:         80
        .size:           8
        .value_kind:     by_value
    .group_segment_fixed_size: 0
    .kernarg_segment_align: 8
    .kernarg_segment_size: 88
    .language:       OpenCL C
    .language_version:
      - 2
      - 0
    .max_flat_workgroup_size: 1024
    .name:           _ZN9rocsolver6v33100L17larf_right_kernelILi1024EfiPfEEvT1_S3_T2_lS3_lPKT0_lS4_lS3_l
    .private_segment_fixed_size: 0
    .sgpr_count:     36
    .sgpr_spill_count: 0
    .symbol:         _ZN9rocsolver6v33100L17larf_right_kernelILi1024EfiPfEEvT1_S3_T2_lS3_lPKT0_lS4_lS3_l.kd
    .uniform_work_group_size: 1
    .uses_dynamic_stack: false
    .vgpr_count:     13
    .vgpr_spill_count: 0
    .wavefront_size: 32
    .workgroup_processor_mode: 1
  - .args:
      - .address_space:  global
        .offset:         0
        .size:           8
        .value_kind:     global_buffer
      - .offset:         8
        .size:           4
        .value_kind:     by_value
      - .offset:         16
        .size:           8
        .value_kind:     by_value
    .group_segment_fixed_size: 0
    .kernarg_segment_align: 8
    .kernarg_segment_size: 24
    .language:       OpenCL C
    .language_version:
      - 2
      - 0
    .max_flat_workgroup_size: 32
    .name:           _ZN9rocsolver6v33100L6iota_nIdEEvPT_jS2_
    .private_segment_fixed_size: 0
    .sgpr_count:     8
    .sgpr_spill_count: 0
    .symbol:         _ZN9rocsolver6v33100L6iota_nIdEEvPT_jS2_.kd
    .uniform_work_group_size: 1
    .uses_dynamic_stack: false
    .vgpr_count:     3
    .vgpr_spill_count: 0
    .wavefront_size: 32
    .workgroup_processor_mode: 1
  - .args:
      - .offset:         0
        .size:           4
        .value_kind:     by_value
      - .offset:         4
        .size:           4
        .value_kind:     by_value
      - .address_space:  global
        .offset:         8
        .size:           8
        .value_kind:     global_buffer
      - .offset:         16
        .size:           8
        .value_kind:     by_value
      - .offset:         24
        .size:           4
        .value_kind:     by_value
      - .offset:         32
        .size:           8
        .value_kind:     by_value
      - .address_space:  global
        .offset:         40
        .size:           8
        .value_kind:     global_buffer
      - .offset:         48
        .size:           8
        .value_kind:     by_value
      - .address_space:  global
        .offset:         56
        .size:           8
        .value_kind:     global_buffer
      - .offset:         64
        .size:           8
        .value_kind:     by_value
      - .offset:         72
        .size:           4
        .value_kind:     by_value
      - .offset:         80
        .size:           8
        .value_kind:     by_value
    .group_segment_fixed_size: 0
    .kernarg_segment_align: 8
    .kernarg_segment_size: 88
    .language:       OpenCL C
    .language_version:
      - 2
      - 0
    .max_flat_workgroup_size: 1024
    .name:           _ZN9rocsolver6v33100L16larf_left_kernelILi1024EdiPdEEvT1_S3_T2_lS3_lPKT0_lS4_lS3_l
    .private_segment_fixed_size: 0
    .sgpr_count:     34
    .sgpr_spill_count: 0
    .symbol:         _ZN9rocsolver6v33100L16larf_left_kernelILi1024EdiPdEEvT1_S3_T2_lS3_lPKT0_lS4_lS3_l.kd
    .uniform_work_group_size: 1
    .uses_dynamic_stack: false
    .vgpr_count:     15
    .vgpr_spill_count: 0
    .wavefront_size: 32
    .workgroup_processor_mode: 1
  - .args:
      - .offset:         0
        .size:           4
        .value_kind:     by_value
      - .offset:         4
        .size:           4
        .value_kind:     by_value
      - .address_space:  global
        .offset:         8
        .size:           8
        .value_kind:     global_buffer
      - .offset:         16
        .size:           8
        .value_kind:     by_value
      - .offset:         24
        .size:           4
        .value_kind:     by_value
      - .offset:         32
        .size:           8
        .value_kind:     by_value
      - .address_space:  global
        .offset:         40
        .size:           8
        .value_kind:     global_buffer
      - .offset:         48
        .size:           8
        .value_kind:     by_value
      - .address_space:  global
        .offset:         56
        .size:           8
        .value_kind:     global_buffer
      - .offset:         64
        .size:           8
        .value_kind:     by_value
      - .offset:         72
        .size:           4
        .value_kind:     by_value
      - .offset:         80
        .size:           8
        .value_kind:     by_value
    .group_segment_fixed_size: 0
    .kernarg_segment_align: 8
    .kernarg_segment_size: 88
    .language:       OpenCL C
    .language_version:
      - 2
      - 0
    .max_flat_workgroup_size: 1024
    .name:           _ZN9rocsolver6v33100L17larf_right_kernelILi1024EdiPdEEvT1_S3_T2_lS3_lPKT0_lS4_lS3_l
    .private_segment_fixed_size: 0
    .sgpr_count:     36
    .sgpr_spill_count: 0
    .symbol:         _ZN9rocsolver6v33100L17larf_right_kernelILi1024EdiPdEEvT1_S3_T2_lS3_lPKT0_lS4_lS3_l.kd
    .uniform_work_group_size: 1
    .uses_dynamic_stack: false
    .vgpr_count:     15
    .vgpr_spill_count: 0
    .wavefront_size: 32
    .workgroup_processor_mode: 1
  - .args:
      - .address_space:  global
        .offset:         0
        .size:           8
        .value_kind:     global_buffer
      - .offset:         8
        .size:           4
        .value_kind:     by_value
      - .offset:         12
        .size:           8
        .value_kind:     by_value
    .group_segment_fixed_size: 0
    .kernarg_segment_align: 8
    .kernarg_segment_size: 20
    .language:       OpenCL C
    .language_version:
      - 2
      - 0
    .max_flat_workgroup_size: 32
    .name:           _ZN9rocsolver6v33100L6iota_nI19rocblas_complex_numIfEEEvPT_jS4_
    .private_segment_fixed_size: 0
    .sgpr_count:     8
    .sgpr_spill_count: 0
    .symbol:         _ZN9rocsolver6v33100L6iota_nI19rocblas_complex_numIfEEEvPT_jS4_.kd
    .uniform_work_group_size: 1
    .uses_dynamic_stack: false
    .vgpr_count:     3
    .vgpr_spill_count: 0
    .wavefront_size: 32
    .workgroup_processor_mode: 1
  - .args:
      - .offset:         0
        .size:           4
        .value_kind:     by_value
      - .offset:         4
        .size:           4
        .value_kind:     by_value
      - .address_space:  global
        .offset:         8
        .size:           8
        .value_kind:     global_buffer
      - .offset:         16
        .size:           8
        .value_kind:     by_value
      - .offset:         24
        .size:           4
        .value_kind:     by_value
      - .offset:         32
        .size:           8
        .value_kind:     by_value
      - .address_space:  global
        .offset:         40
        .size:           8
        .value_kind:     global_buffer
      - .offset:         48
        .size:           8
        .value_kind:     by_value
      - .address_space:  global
        .offset:         56
        .size:           8
        .value_kind:     global_buffer
      - .offset:         64
        .size:           8
        .value_kind:     by_value
      - .offset:         72
        .size:           4
        .value_kind:     by_value
      - .offset:         80
        .size:           8
        .value_kind:     by_value
    .group_segment_fixed_size: 0
    .kernarg_segment_align: 8
    .kernarg_segment_size: 88
    .language:       OpenCL C
    .language_version:
      - 2
      - 0
    .max_flat_workgroup_size: 1024
    .name:           _ZN9rocsolver6v33100L16larf_left_kernelILi1024E19rocblas_complex_numIfEiPS3_EEvT1_S5_T2_lS5_lPKT0_lS6_lS5_l
    .private_segment_fixed_size: 0
    .sgpr_count:     34
    .sgpr_spill_count: 0
    .symbol:         _ZN9rocsolver6v33100L16larf_left_kernelILi1024E19rocblas_complex_numIfEiPS3_EEvT1_S5_T2_lS5_lPKT0_lS6_lS5_l.kd
    .uniform_work_group_size: 1
    .uses_dynamic_stack: false
    .vgpr_count:     17
    .vgpr_spill_count: 0
    .wavefront_size: 32
    .workgroup_processor_mode: 1
  - .args:
      - .offset:         0
        .size:           4
        .value_kind:     by_value
      - .offset:         4
        .size:           4
        .value_kind:     by_value
      - .address_space:  global
        .offset:         8
        .size:           8
        .value_kind:     global_buffer
      - .offset:         16
        .size:           8
        .value_kind:     by_value
      - .offset:         24
        .size:           4
        .value_kind:     by_value
      - .offset:         32
        .size:           8
        .value_kind:     by_value
      - .address_space:  global
        .offset:         40
        .size:           8
        .value_kind:     global_buffer
      - .offset:         48
        .size:           8
        .value_kind:     by_value
      - .address_space:  global
        .offset:         56
        .size:           8
        .value_kind:     global_buffer
      - .offset:         64
        .size:           8
        .value_kind:     by_value
      - .offset:         72
        .size:           4
        .value_kind:     by_value
      - .offset:         80
        .size:           8
        .value_kind:     by_value
    .group_segment_fixed_size: 0
    .kernarg_segment_align: 8
    .kernarg_segment_size: 88
    .language:       OpenCL C
    .language_version:
      - 2
      - 0
    .max_flat_workgroup_size: 1024
    .name:           _ZN9rocsolver6v33100L17larf_right_kernelILi1024E19rocblas_complex_numIfEiPS3_EEvT1_S5_T2_lS5_lPKT0_lS6_lS5_l
    .private_segment_fixed_size: 0
    .sgpr_count:     36
    .sgpr_spill_count: 0
    .symbol:         _ZN9rocsolver6v33100L17larf_right_kernelILi1024E19rocblas_complex_numIfEiPS3_EEvT1_S5_T2_lS5_lPKT0_lS6_lS5_l.kd
    .uniform_work_group_size: 1
    .uses_dynamic_stack: false
    .vgpr_count:     17
    .vgpr_spill_count: 0
    .wavefront_size: 32
    .workgroup_processor_mode: 1
  - .args:
      - .address_space:  global
        .offset:         0
        .size:           8
        .value_kind:     global_buffer
      - .offset:         8
        .size:           4
        .value_kind:     by_value
      - .offset:         16
        .size:           16
        .value_kind:     by_value
    .group_segment_fixed_size: 0
    .kernarg_segment_align: 8
    .kernarg_segment_size: 32
    .language:       OpenCL C
    .language_version:
      - 2
      - 0
    .max_flat_workgroup_size: 32
    .name:           _ZN9rocsolver6v33100L6iota_nI19rocblas_complex_numIdEEEvPT_jS4_
    .private_segment_fixed_size: 0
    .sgpr_count:     8
    .sgpr_spill_count: 0
    .symbol:         _ZN9rocsolver6v33100L6iota_nI19rocblas_complex_numIdEEEvPT_jS4_.kd
    .uniform_work_group_size: 1
    .uses_dynamic_stack: false
    .vgpr_count:     5
    .vgpr_spill_count: 0
    .wavefront_size: 32
    .workgroup_processor_mode: 1
  - .args:
      - .offset:         0
        .size:           4
        .value_kind:     by_value
      - .offset:         4
        .size:           4
        .value_kind:     by_value
      - .address_space:  global
        .offset:         8
        .size:           8
        .value_kind:     global_buffer
      - .offset:         16
        .size:           8
        .value_kind:     by_value
      - .offset:         24
        .size:           4
        .value_kind:     by_value
      - .offset:         32
        .size:           8
        .value_kind:     by_value
      - .address_space:  global
        .offset:         40
        .size:           8
        .value_kind:     global_buffer
      - .offset:         48
        .size:           8
        .value_kind:     by_value
      - .address_space:  global
        .offset:         56
        .size:           8
        .value_kind:     global_buffer
      - .offset:         64
        .size:           8
        .value_kind:     by_value
      - .offset:         72
        .size:           4
        .value_kind:     by_value
      - .offset:         80
        .size:           8
        .value_kind:     by_value
    .group_segment_fixed_size: 0
    .kernarg_segment_align: 8
    .kernarg_segment_size: 88
    .language:       OpenCL C
    .language_version:
      - 2
      - 0
    .max_flat_workgroup_size: 1024
    .name:           _ZN9rocsolver6v33100L16larf_left_kernelILi1024E19rocblas_complex_numIdEiPS3_EEvT1_S5_T2_lS5_lPKT0_lS6_lS5_l
    .private_segment_fixed_size: 0
    .sgpr_count:     34
    .sgpr_spill_count: 0
    .symbol:         _ZN9rocsolver6v33100L16larf_left_kernelILi1024E19rocblas_complex_numIdEiPS3_EEvT1_S5_T2_lS5_lPKT0_lS6_lS5_l.kd
    .uniform_work_group_size: 1
    .uses_dynamic_stack: false
    .vgpr_count:     20
    .vgpr_spill_count: 0
    .wavefront_size: 32
    .workgroup_processor_mode: 1
  - .args:
      - .offset:         0
        .size:           4
        .value_kind:     by_value
      - .offset:         4
        .size:           4
        .value_kind:     by_value
      - .address_space:  global
        .offset:         8
        .size:           8
        .value_kind:     global_buffer
      - .offset:         16
        .size:           8
        .value_kind:     by_value
      - .offset:         24
        .size:           4
        .value_kind:     by_value
      - .offset:         32
        .size:           8
        .value_kind:     by_value
      - .address_space:  global
        .offset:         40
        .size:           8
        .value_kind:     global_buffer
      - .offset:         48
        .size:           8
        .value_kind:     by_value
      - .address_space:  global
        .offset:         56
        .size:           8
        .value_kind:     global_buffer
      - .offset:         64
        .size:           8
        .value_kind:     by_value
      - .offset:         72
        .size:           4
        .value_kind:     by_value
      - .offset:         80
        .size:           8
        .value_kind:     by_value
    .group_segment_fixed_size: 0
    .kernarg_segment_align: 8
    .kernarg_segment_size: 88
    .language:       OpenCL C
    .language_version:
      - 2
      - 0
    .max_flat_workgroup_size: 1024
    .name:           _ZN9rocsolver6v33100L17larf_right_kernelILi1024E19rocblas_complex_numIdEiPS3_EEvT1_S5_T2_lS5_lPKT0_lS6_lS5_l
    .private_segment_fixed_size: 0
    .sgpr_count:     36
    .sgpr_spill_count: 0
    .symbol:         _ZN9rocsolver6v33100L17larf_right_kernelILi1024E19rocblas_complex_numIdEiPS3_EEvT1_S5_T2_lS5_lPKT0_lS6_lS5_l.kd
    .uniform_work_group_size: 1
    .uses_dynamic_stack: false
    .vgpr_count:     20
    .vgpr_spill_count: 0
    .wavefront_size: 32
    .workgroup_processor_mode: 1
  - .args:
      - .offset:         0
        .size:           8
        .value_kind:     by_value
      - .offset:         8
        .size:           8
        .value_kind:     by_value
      - .address_space:  global
        .offset:         16
        .size:           8
        .value_kind:     global_buffer
      - .offset:         24
        .size:           8
        .value_kind:     by_value
      - .offset:         32
        .size:           8
        .value_kind:     by_value
      - .offset:         40
        .size:           8
        .value_kind:     by_value
      - .address_space:  global
        .offset:         48
        .size:           8
        .value_kind:     global_buffer
      - .offset:         56
        .size:           8
        .value_kind:     by_value
      - .address_space:  global
        .offset:         64
        .size:           8
        .value_kind:     global_buffer
      - .offset:         72
        .size:           8
        .value_kind:     by_value
      - .offset:         80
        .size:           8
        .value_kind:     by_value
      - .offset:         88
        .size:           8
        .value_kind:     by_value
    .group_segment_fixed_size: 0
    .kernarg_segment_align: 8
    .kernarg_segment_size: 96
    .language:       OpenCL C
    .language_version:
      - 2
      - 0
    .max_flat_workgroup_size: 1024
    .name:           _ZN9rocsolver6v33100L16larf_left_kernelILi1024EflPfEEvT1_S3_T2_lS3_lPKT0_lS4_lS3_l
    .private_segment_fixed_size: 0
    .sgpr_count:     42
    .sgpr_spill_count: 0
    .symbol:         _ZN9rocsolver6v33100L16larf_left_kernelILi1024EflPfEEvT1_S3_T2_lS3_lPKT0_lS4_lS3_l.kd
    .uniform_work_group_size: 1
    .uses_dynamic_stack: false
    .vgpr_count:     14
    .vgpr_spill_count: 0
    .wavefront_size: 32
    .workgroup_processor_mode: 1
  - .args:
      - .offset:         0
        .size:           8
        .value_kind:     by_value
      - .offset:         8
        .size:           8
        .value_kind:     by_value
      - .address_space:  global
        .offset:         16
        .size:           8
        .value_kind:     global_buffer
      - .offset:         24
        .size:           8
        .value_kind:     by_value
      - .offset:         32
        .size:           8
        .value_kind:     by_value
      - .offset:         40
        .size:           8
        .value_kind:     by_value
      - .address_space:  global
        .offset:         48
        .size:           8
        .value_kind:     global_buffer
      - .offset:         56
        .size:           8
        .value_kind:     by_value
      - .address_space:  global
        .offset:         64
        .size:           8
        .value_kind:     global_buffer
      - .offset:         72
        .size:           8
        .value_kind:     by_value
      - .offset:         80
        .size:           8
        .value_kind:     by_value
      - .offset:         88
        .size:           8
        .value_kind:     by_value
    .group_segment_fixed_size: 0
    .kernarg_segment_align: 8
    .kernarg_segment_size: 96
    .language:       OpenCL C
    .language_version:
      - 2
      - 0
    .max_flat_workgroup_size: 1024
    .name:           _ZN9rocsolver6v33100L17larf_right_kernelILi1024EflPfEEvT1_S3_T2_lS3_lPKT0_lS4_lS3_l
    .private_segment_fixed_size: 0
    .sgpr_count:     32
    .sgpr_spill_count: 0
    .symbol:         _ZN9rocsolver6v33100L17larf_right_kernelILi1024EflPfEEvT1_S3_T2_lS3_lPKT0_lS4_lS3_l.kd
    .uniform_work_group_size: 1
    .uses_dynamic_stack: false
    .vgpr_count:     14
    .vgpr_spill_count: 0
    .wavefront_size: 32
    .workgroup_processor_mode: 1
  - .args:
      - .offset:         0
        .size:           8
        .value_kind:     by_value
      - .offset:         8
        .size:           8
        .value_kind:     by_value
      - .address_space:  global
        .offset:         16
        .size:           8
        .value_kind:     global_buffer
      - .offset:         24
        .size:           8
        .value_kind:     by_value
      - .offset:         32
        .size:           8
        .value_kind:     by_value
      - .offset:         40
        .size:           8
        .value_kind:     by_value
      - .address_space:  global
        .offset:         48
        .size:           8
        .value_kind:     global_buffer
      - .offset:         56
        .size:           8
        .value_kind:     by_value
      - .address_space:  global
        .offset:         64
        .size:           8
        .value_kind:     global_buffer
      - .offset:         72
        .size:           8
        .value_kind:     by_value
      - .offset:         80
        .size:           8
        .value_kind:     by_value
      - .offset:         88
        .size:           8
        .value_kind:     by_value
    .group_segment_fixed_size: 0
    .kernarg_segment_align: 8
    .kernarg_segment_size: 96
    .language:       OpenCL C
    .language_version:
      - 2
      - 0
    .max_flat_workgroup_size: 1024
    .name:           _ZN9rocsolver6v33100L16larf_left_kernelILi1024EdlPdEEvT1_S3_T2_lS3_lPKT0_lS4_lS3_l
    .private_segment_fixed_size: 0
    .sgpr_count:     42
    .sgpr_spill_count: 0
    .symbol:         _ZN9rocsolver6v33100L16larf_left_kernelILi1024EdlPdEEvT1_S3_T2_lS3_lPKT0_lS4_lS3_l.kd
    .uniform_work_group_size: 1
    .uses_dynamic_stack: false
    .vgpr_count:     14
    .vgpr_spill_count: 0
    .wavefront_size: 32
    .workgroup_processor_mode: 1
  - .args:
      - .offset:         0
        .size:           8
        .value_kind:     by_value
      - .offset:         8
        .size:           8
        .value_kind:     by_value
      - .address_space:  global
        .offset:         16
        .size:           8
        .value_kind:     global_buffer
      - .offset:         24
        .size:           8
        .value_kind:     by_value
      - .offset:         32
        .size:           8
        .value_kind:     by_value
      - .offset:         40
        .size:           8
        .value_kind:     by_value
      - .address_space:  global
        .offset:         48
        .size:           8
        .value_kind:     global_buffer
      - .offset:         56
        .size:           8
        .value_kind:     by_value
      - .address_space:  global
        .offset:         64
        .size:           8
        .value_kind:     global_buffer
      - .offset:         72
        .size:           8
        .value_kind:     by_value
      - .offset:         80
        .size:           8
        .value_kind:     by_value
      - .offset:         88
        .size:           8
        .value_kind:     by_value
    .group_segment_fixed_size: 0
    .kernarg_segment_align: 8
    .kernarg_segment_size: 96
    .language:       OpenCL C
    .language_version:
      - 2
      - 0
    .max_flat_workgroup_size: 1024
    .name:           _ZN9rocsolver6v33100L17larf_right_kernelILi1024EdlPdEEvT1_S3_T2_lS3_lPKT0_lS4_lS3_l
    .private_segment_fixed_size: 0
    .sgpr_count:     32
    .sgpr_spill_count: 0
    .symbol:         _ZN9rocsolver6v33100L17larf_right_kernelILi1024EdlPdEEvT1_S3_T2_lS3_lPKT0_lS4_lS3_l.kd
    .uniform_work_group_size: 1
    .uses_dynamic_stack: false
    .vgpr_count:     14
    .vgpr_spill_count: 0
    .wavefront_size: 32
    .workgroup_processor_mode: 1
  - .args:
      - .offset:         0
        .size:           8
        .value_kind:     by_value
      - .offset:         8
        .size:           8
        .value_kind:     by_value
      - .address_space:  global
        .offset:         16
        .size:           8
        .value_kind:     global_buffer
      - .offset:         24
        .size:           8
        .value_kind:     by_value
      - .offset:         32
        .size:           8
        .value_kind:     by_value
      - .offset:         40
        .size:           8
        .value_kind:     by_value
      - .address_space:  global
        .offset:         48
        .size:           8
        .value_kind:     global_buffer
      - .offset:         56
        .size:           8
        .value_kind:     by_value
      - .address_space:  global
        .offset:         64
        .size:           8
        .value_kind:     global_buffer
      - .offset:         72
        .size:           8
        .value_kind:     by_value
      - .offset:         80
        .size:           8
        .value_kind:     by_value
      - .offset:         88
        .size:           8
        .value_kind:     by_value
    .group_segment_fixed_size: 0
    .kernarg_segment_align: 8
    .kernarg_segment_size: 96
    .language:       OpenCL C
    .language_version:
      - 2
      - 0
    .max_flat_workgroup_size: 1024
    .name:           _ZN9rocsolver6v33100L16larf_left_kernelILi1024E19rocblas_complex_numIfElPS3_EEvT1_S5_T2_lS5_lPKT0_lS6_lS5_l
    .private_segment_fixed_size: 0
    .sgpr_count:     42
    .sgpr_spill_count: 0
    .symbol:         _ZN9rocsolver6v33100L16larf_left_kernelILi1024E19rocblas_complex_numIfElPS3_EEvT1_S5_T2_lS5_lPKT0_lS6_lS5_l.kd
    .uniform_work_group_size: 1
    .uses_dynamic_stack: false
    .vgpr_count:     20
    .vgpr_spill_count: 0
    .wavefront_size: 32
    .workgroup_processor_mode: 1
  - .args:
      - .offset:         0
        .size:           8
        .value_kind:     by_value
      - .offset:         8
        .size:           8
        .value_kind:     by_value
      - .address_space:  global
        .offset:         16
        .size:           8
        .value_kind:     global_buffer
      - .offset:         24
        .size:           8
        .value_kind:     by_value
      - .offset:         32
        .size:           8
        .value_kind:     by_value
      - .offset:         40
        .size:           8
        .value_kind:     by_value
      - .address_space:  global
        .offset:         48
        .size:           8
        .value_kind:     global_buffer
      - .offset:         56
        .size:           8
        .value_kind:     by_value
      - .address_space:  global
        .offset:         64
        .size:           8
        .value_kind:     global_buffer
      - .offset:         72
        .size:           8
        .value_kind:     by_value
      - .offset:         80
        .size:           8
        .value_kind:     by_value
      - .offset:         88
        .size:           8
        .value_kind:     by_value
    .group_segment_fixed_size: 0
    .kernarg_segment_align: 8
    .kernarg_segment_size: 96
    .language:       OpenCL C
    .language_version:
      - 2
      - 0
    .max_flat_workgroup_size: 1024
    .name:           _ZN9rocsolver6v33100L17larf_right_kernelILi1024E19rocblas_complex_numIfElPS3_EEvT1_S5_T2_lS5_lPKT0_lS6_lS5_l
    .private_segment_fixed_size: 0
    .sgpr_count:     32
    .sgpr_spill_count: 0
    .symbol:         _ZN9rocsolver6v33100L17larf_right_kernelILi1024E19rocblas_complex_numIfElPS3_EEvT1_S5_T2_lS5_lPKT0_lS6_lS5_l.kd
    .uniform_work_group_size: 1
    .uses_dynamic_stack: false
    .vgpr_count:     20
    .vgpr_spill_count: 0
    .wavefront_size: 32
    .workgroup_processor_mode: 1
  - .args:
      - .offset:         0
        .size:           8
        .value_kind:     by_value
      - .offset:         8
        .size:           8
        .value_kind:     by_value
      - .address_space:  global
        .offset:         16
        .size:           8
        .value_kind:     global_buffer
      - .offset:         24
        .size:           8
        .value_kind:     by_value
      - .offset:         32
        .size:           8
        .value_kind:     by_value
      - .offset:         40
        .size:           8
        .value_kind:     by_value
      - .address_space:  global
        .offset:         48
        .size:           8
        .value_kind:     global_buffer
      - .offset:         56
        .size:           8
        .value_kind:     by_value
      - .address_space:  global
        .offset:         64
        .size:           8
        .value_kind:     global_buffer
      - .offset:         72
        .size:           8
        .value_kind:     by_value
      - .offset:         80
        .size:           8
        .value_kind:     by_value
      - .offset:         88
        .size:           8
        .value_kind:     by_value
    .group_segment_fixed_size: 0
    .kernarg_segment_align: 8
    .kernarg_segment_size: 96
    .language:       OpenCL C
    .language_version:
      - 2
      - 0
    .max_flat_workgroup_size: 1024
    .name:           _ZN9rocsolver6v33100L16larf_left_kernelILi1024E19rocblas_complex_numIdElPS3_EEvT1_S5_T2_lS5_lPKT0_lS6_lS5_l
    .private_segment_fixed_size: 0
    .sgpr_count:     42
    .sgpr_spill_count: 0
    .symbol:         _ZN9rocsolver6v33100L16larf_left_kernelILi1024E19rocblas_complex_numIdElPS3_EEvT1_S5_T2_lS5_lPKT0_lS6_lS5_l.kd
    .uniform_work_group_size: 1
    .uses_dynamic_stack: false
    .vgpr_count:     22
    .vgpr_spill_count: 0
    .wavefront_size: 32
    .workgroup_processor_mode: 1
  - .args:
      - .offset:         0
        .size:           8
        .value_kind:     by_value
      - .offset:         8
        .size:           8
        .value_kind:     by_value
      - .address_space:  global
        .offset:         16
        .size:           8
        .value_kind:     global_buffer
      - .offset:         24
        .size:           8
        .value_kind:     by_value
      - .offset:         32
        .size:           8
        .value_kind:     by_value
      - .offset:         40
        .size:           8
        .value_kind:     by_value
      - .address_space:  global
        .offset:         48
        .size:           8
        .value_kind:     global_buffer
      - .offset:         56
        .size:           8
        .value_kind:     by_value
      - .address_space:  global
        .offset:         64
        .size:           8
        .value_kind:     global_buffer
      - .offset:         72
        .size:           8
        .value_kind:     by_value
      - .offset:         80
        .size:           8
        .value_kind:     by_value
      - .offset:         88
        .size:           8
        .value_kind:     by_value
    .group_segment_fixed_size: 0
    .kernarg_segment_align: 8
    .kernarg_segment_size: 96
    .language:       OpenCL C
    .language_version:
      - 2
      - 0
    .max_flat_workgroup_size: 1024
    .name:           _ZN9rocsolver6v33100L17larf_right_kernelILi1024E19rocblas_complex_numIdElPS3_EEvT1_S5_T2_lS5_lPKT0_lS6_lS5_l
    .private_segment_fixed_size: 0
    .sgpr_count:     32
    .sgpr_spill_count: 0
    .symbol:         _ZN9rocsolver6v33100L17larf_right_kernelILi1024E19rocblas_complex_numIdElPS3_EEvT1_S5_T2_lS5_lPKT0_lS6_lS5_l.kd
    .uniform_work_group_size: 1
    .uses_dynamic_stack: false
    .vgpr_count:     22
    .vgpr_spill_count: 0
    .wavefront_size: 32
    .workgroup_processor_mode: 1
amdhsa.target:   amdgcn-amd-amdhsa--gfx1030
amdhsa.version:
  - 1
  - 2
...

	.end_amdgpu_metadata
